;; amdgpu-corpus repo=ROCm/rocFFT kind=compiled arch=gfx906 opt=O3
	.text
	.amdgcn_target "amdgcn-amd-amdhsa--gfx906"
	.amdhsa_code_object_version 6
	.protected	fft_rtc_back_len3125_factors_5_5_5_5_5_wgs_125_tpt_125_halfLds_dp_op_CI_CI_sbrr_dirReg ; -- Begin function fft_rtc_back_len3125_factors_5_5_5_5_5_wgs_125_tpt_125_halfLds_dp_op_CI_CI_sbrr_dirReg
	.globl	fft_rtc_back_len3125_factors_5_5_5_5_5_wgs_125_tpt_125_halfLds_dp_op_CI_CI_sbrr_dirReg
	.p2align	8
	.type	fft_rtc_back_len3125_factors_5_5_5_5_5_wgs_125_tpt_125_halfLds_dp_op_CI_CI_sbrr_dirReg,@function
fft_rtc_back_len3125_factors_5_5_5_5_5_wgs_125_tpt_125_halfLds_dp_op_CI_CI_sbrr_dirReg: ; @fft_rtc_back_len3125_factors_5_5_5_5_5_wgs_125_tpt_125_halfLds_dp_op_CI_CI_sbrr_dirReg
; %bb.0:
	s_load_dwordx4 s[16:19], s[4:5], 0x18
	s_load_dwordx4 s[12:15], s[4:5], 0x0
	;; [unrolled: 1-line block ×3, first 2 shown]
	v_mul_u32_u24_e32 v1, 0x20d, v0
	v_add_u32_sdwa v6, s6, v1 dst_sel:DWORD dst_unused:UNUSED_PAD src0_sel:DWORD src1_sel:WORD_1
	s_waitcnt lgkmcnt(0)
	s_load_dwordx2 s[20:21], s[16:17], 0x0
	s_load_dwordx2 s[2:3], s[18:19], 0x0
	v_cmp_lt_u64_e64 s[0:1], s[14:15], 2
	v_mov_b32_e32 v1, 0
	v_mov_b32_e32 v4, 0
	;; [unrolled: 1-line block ×3, first 2 shown]
	s_and_b64 vcc, exec, s[0:1]
	v_mov_b32_e32 v5, 0
	s_cbranch_vccnz .LBB0_8
; %bb.1:
	s_load_dwordx2 s[0:1], s[4:5], 0x10
	s_add_u32 s6, s18, 8
	s_addc_u32 s7, s19, 0
	s_add_u32 s22, s16, 8
	v_mov_b32_e32 v4, 0
	s_addc_u32 s23, s17, 0
	v_mov_b32_e32 v5, 0
	s_waitcnt lgkmcnt(0)
	s_add_u32 s24, s0, 8
	v_mov_b32_e32 v101, v5
	s_addc_u32 s25, s1, 0
	s_mov_b64 s[26:27], 1
	v_mov_b32_e32 v100, v4
.LBB0_2:                                ; =>This Inner Loop Header: Depth=1
	s_load_dwordx2 s[28:29], s[24:25], 0x0
                                        ; implicit-def: $vgpr102_vgpr103
	s_waitcnt lgkmcnt(0)
	v_or_b32_e32 v2, s29, v7
	v_cmp_ne_u64_e32 vcc, 0, v[1:2]
	s_and_saveexec_b64 s[0:1], vcc
	s_xor_b64 s[30:31], exec, s[0:1]
	s_cbranch_execz .LBB0_4
; %bb.3:                                ;   in Loop: Header=BB0_2 Depth=1
	v_cvt_f32_u32_e32 v2, s28
	v_cvt_f32_u32_e32 v3, s29
	s_sub_u32 s0, 0, s28
	s_subb_u32 s1, 0, s29
	v_mac_f32_e32 v2, 0x4f800000, v3
	v_rcp_f32_e32 v2, v2
	v_mul_f32_e32 v2, 0x5f7ffffc, v2
	v_mul_f32_e32 v3, 0x2f800000, v2
	v_trunc_f32_e32 v3, v3
	v_mac_f32_e32 v2, 0xcf800000, v3
	v_cvt_u32_f32_e32 v3, v3
	v_cvt_u32_f32_e32 v2, v2
	v_mul_lo_u32 v8, s0, v3
	v_mul_hi_u32 v9, s0, v2
	v_mul_lo_u32 v11, s1, v2
	v_mul_lo_u32 v10, s0, v2
	v_add_u32_e32 v8, v9, v8
	v_add_u32_e32 v8, v8, v11
	v_mul_hi_u32 v9, v2, v10
	v_mul_lo_u32 v11, v2, v8
	v_mul_hi_u32 v13, v2, v8
	v_mul_hi_u32 v12, v3, v10
	v_mul_lo_u32 v10, v3, v10
	v_mul_hi_u32 v14, v3, v8
	v_add_co_u32_e32 v9, vcc, v9, v11
	v_addc_co_u32_e32 v11, vcc, 0, v13, vcc
	v_mul_lo_u32 v8, v3, v8
	v_add_co_u32_e32 v9, vcc, v9, v10
	v_addc_co_u32_e32 v9, vcc, v11, v12, vcc
	v_addc_co_u32_e32 v10, vcc, 0, v14, vcc
	v_add_co_u32_e32 v8, vcc, v9, v8
	v_addc_co_u32_e32 v9, vcc, 0, v10, vcc
	v_add_co_u32_e32 v2, vcc, v2, v8
	v_addc_co_u32_e32 v3, vcc, v3, v9, vcc
	v_mul_lo_u32 v8, s0, v3
	v_mul_hi_u32 v9, s0, v2
	v_mul_lo_u32 v10, s1, v2
	v_mul_lo_u32 v11, s0, v2
	v_add_u32_e32 v8, v9, v8
	v_add_u32_e32 v8, v8, v10
	v_mul_lo_u32 v12, v2, v8
	v_mul_hi_u32 v13, v2, v11
	v_mul_hi_u32 v14, v2, v8
	;; [unrolled: 1-line block ×3, first 2 shown]
	v_mul_lo_u32 v11, v3, v11
	v_mul_hi_u32 v9, v3, v8
	v_add_co_u32_e32 v12, vcc, v13, v12
	v_addc_co_u32_e32 v13, vcc, 0, v14, vcc
	v_mul_lo_u32 v8, v3, v8
	v_add_co_u32_e32 v11, vcc, v12, v11
	v_addc_co_u32_e32 v10, vcc, v13, v10, vcc
	v_addc_co_u32_e32 v9, vcc, 0, v9, vcc
	v_add_co_u32_e32 v8, vcc, v10, v8
	v_addc_co_u32_e32 v9, vcc, 0, v9, vcc
	v_add_co_u32_e32 v8, vcc, v2, v8
	v_addc_co_u32_e32 v9, vcc, v3, v9, vcc
	v_mad_u64_u32 v[2:3], s[0:1], v6, v9, 0
	v_mul_hi_u32 v10, v6, v8
	v_add_co_u32_e32 v10, vcc, v10, v2
	v_addc_co_u32_e32 v11, vcc, 0, v3, vcc
	v_mad_u64_u32 v[2:3], s[0:1], v7, v8, 0
	v_mad_u64_u32 v[8:9], s[0:1], v7, v9, 0
	v_add_co_u32_e32 v2, vcc, v10, v2
	v_addc_co_u32_e32 v2, vcc, v11, v3, vcc
	v_addc_co_u32_e32 v3, vcc, 0, v9, vcc
	v_add_co_u32_e32 v8, vcc, v2, v8
	v_addc_co_u32_e32 v9, vcc, 0, v3, vcc
	v_mul_lo_u32 v10, s29, v8
	v_mul_lo_u32 v11, s28, v9
	v_mad_u64_u32 v[2:3], s[0:1], s28, v8, 0
	v_add3_u32 v3, v3, v11, v10
	v_sub_u32_e32 v10, v7, v3
	v_mov_b32_e32 v11, s29
	v_sub_co_u32_e32 v2, vcc, v6, v2
	v_subb_co_u32_e64 v10, s[0:1], v10, v11, vcc
	v_subrev_co_u32_e64 v11, s[0:1], s28, v2
	v_subbrev_co_u32_e64 v10, s[0:1], 0, v10, s[0:1]
	v_cmp_le_u32_e64 s[0:1], s29, v10
	v_cndmask_b32_e64 v12, 0, -1, s[0:1]
	v_cmp_le_u32_e64 s[0:1], s28, v11
	v_cndmask_b32_e64 v11, 0, -1, s[0:1]
	v_cmp_eq_u32_e64 s[0:1], s29, v10
	v_cndmask_b32_e64 v10, v12, v11, s[0:1]
	v_add_co_u32_e64 v11, s[0:1], 2, v8
	v_addc_co_u32_e64 v12, s[0:1], 0, v9, s[0:1]
	v_add_co_u32_e64 v13, s[0:1], 1, v8
	v_addc_co_u32_e64 v14, s[0:1], 0, v9, s[0:1]
	v_subb_co_u32_e32 v3, vcc, v7, v3, vcc
	v_cmp_ne_u32_e64 s[0:1], 0, v10
	v_cmp_le_u32_e32 vcc, s29, v3
	v_cndmask_b32_e64 v10, v14, v12, s[0:1]
	v_cndmask_b32_e64 v12, 0, -1, vcc
	v_cmp_le_u32_e32 vcc, s28, v2
	v_cndmask_b32_e64 v2, 0, -1, vcc
	v_cmp_eq_u32_e32 vcc, s29, v3
	v_cndmask_b32_e32 v2, v12, v2, vcc
	v_cmp_ne_u32_e32 vcc, 0, v2
	v_cndmask_b32_e64 v2, v13, v11, s[0:1]
	v_cndmask_b32_e32 v103, v9, v10, vcc
	v_cndmask_b32_e32 v102, v8, v2, vcc
.LBB0_4:                                ;   in Loop: Header=BB0_2 Depth=1
	s_andn2_saveexec_b64 s[0:1], s[30:31]
	s_cbranch_execz .LBB0_6
; %bb.5:                                ;   in Loop: Header=BB0_2 Depth=1
	v_cvt_f32_u32_e32 v2, s28
	s_sub_i32 s30, 0, s28
	v_mov_b32_e32 v103, v1
	v_rcp_iflag_f32_e32 v2, v2
	v_mul_f32_e32 v2, 0x4f7ffffe, v2
	v_cvt_u32_f32_e32 v2, v2
	v_mul_lo_u32 v3, s30, v2
	v_mul_hi_u32 v3, v2, v3
	v_add_u32_e32 v2, v2, v3
	v_mul_hi_u32 v2, v6, v2
	v_mul_lo_u32 v3, v2, s28
	v_add_u32_e32 v8, 1, v2
	v_sub_u32_e32 v3, v6, v3
	v_subrev_u32_e32 v9, s28, v3
	v_cmp_le_u32_e32 vcc, s28, v3
	v_cndmask_b32_e32 v3, v3, v9, vcc
	v_cndmask_b32_e32 v2, v2, v8, vcc
	v_add_u32_e32 v8, 1, v2
	v_cmp_le_u32_e32 vcc, s28, v3
	v_cndmask_b32_e32 v102, v2, v8, vcc
.LBB0_6:                                ;   in Loop: Header=BB0_2 Depth=1
	s_or_b64 exec, exec, s[0:1]
	v_mul_lo_u32 v8, v103, s28
	v_mul_lo_u32 v9, v102, s29
	v_mad_u64_u32 v[2:3], s[0:1], v102, s28, 0
	s_load_dwordx2 s[0:1], s[22:23], 0x0
	s_load_dwordx2 s[28:29], s[6:7], 0x0
	v_add3_u32 v3, v3, v9, v8
	v_sub_co_u32_e32 v2, vcc, v6, v2
	v_subb_co_u32_e32 v3, vcc, v7, v3, vcc
	s_waitcnt lgkmcnt(0)
	v_mul_lo_u32 v6, s0, v3
	v_mul_lo_u32 v7, s1, v2
	v_mad_u64_u32 v[4:5], s[0:1], s0, v2, v[4:5]
	v_mul_lo_u32 v3, s28, v3
	v_mul_lo_u32 v8, s29, v2
	v_mad_u64_u32 v[100:101], s[0:1], s28, v2, v[100:101]
	s_add_u32 s26, s26, 1
	s_addc_u32 s27, s27, 0
	s_add_u32 s6, s6, 8
	v_add3_u32 v101, v8, v101, v3
	s_addc_u32 s7, s7, 0
	v_mov_b32_e32 v2, s14
	s_add_u32 s22, s22, 8
	v_mov_b32_e32 v3, s15
	s_addc_u32 s23, s23, 0
	v_cmp_ge_u64_e32 vcc, s[26:27], v[2:3]
	s_add_u32 s24, s24, 8
	v_add3_u32 v5, v7, v5, v6
	s_addc_u32 s25, s25, 0
	s_cbranch_vccnz .LBB0_9
; %bb.7:                                ;   in Loop: Header=BB0_2 Depth=1
	v_mov_b32_e32 v6, v102
	v_mov_b32_e32 v7, v103
	s_branch .LBB0_2
.LBB0_8:
	v_mov_b32_e32 v101, v5
	v_mov_b32_e32 v103, v7
	;; [unrolled: 1-line block ×4, first 2 shown]
.LBB0_9:
	s_load_dwordx2 s[0:1], s[4:5], 0x28
	s_lshl_b64 s[6:7], s[14:15], 3
	s_add_u32 s18, s18, s6
	s_addc_u32 s19, s19, s7
                                        ; implicit-def: $vgpr134
                                        ; implicit-def: $vgpr135
                                        ; implicit-def: $vgpr136
                                        ; implicit-def: $vgpr137
                                        ; implicit-def: $vgpr138
	s_waitcnt lgkmcnt(0)
	v_cmp_gt_u64_e32 vcc, s[0:1], v[102:103]
	v_cmp_le_u64_e64 s[0:1], s[0:1], v[102:103]
	s_and_saveexec_b64 s[4:5], s[0:1]
	s_xor_b64 s[0:1], exec, s[4:5]
; %bb.10:
	s_mov_b32 s4, 0x20c49bb
	v_mul_hi_u32 v1, v0, s4
                                        ; implicit-def: $vgpr4_vgpr5
	v_mul_u32_u24_e32 v1, 0x7d, v1
	v_sub_u32_e32 v134, v0, v1
	v_add_u32_e32 v135, 0x7d, v134
	v_add_u32_e32 v136, 0xfa, v134
	;; [unrolled: 1-line block ×4, first 2 shown]
                                        ; implicit-def: $vgpr0
; %bb.11:
	s_or_saveexec_b64 s[4:5], s[0:1]
                                        ; implicit-def: $vgpr14_vgpr15
                                        ; implicit-def: $vgpr6_vgpr7
                                        ; implicit-def: $vgpr18_vgpr19
                                        ; implicit-def: $vgpr10_vgpr11
                                        ; implicit-def: $vgpr2_vgpr3
                                        ; implicit-def: $vgpr26_vgpr27
                                        ; implicit-def: $vgpr30_vgpr31
                                        ; implicit-def: $vgpr38_vgpr39
                                        ; implicit-def: $vgpr34_vgpr35
                                        ; implicit-def: $vgpr22_vgpr23
                                        ; implicit-def: $vgpr46_vgpr47
                                        ; implicit-def: $vgpr50_vgpr51
                                        ; implicit-def: $vgpr58_vgpr59
                                        ; implicit-def: $vgpr54_vgpr55
                                        ; implicit-def: $vgpr42_vgpr43
                                        ; implicit-def: $vgpr66_vgpr67
                                        ; implicit-def: $vgpr70_vgpr71
                                        ; implicit-def: $vgpr78_vgpr79
                                        ; implicit-def: $vgpr74_vgpr75
                                        ; implicit-def: $vgpr62_vgpr63
                                        ; implicit-def: $vgpr86_vgpr87
                                        ; implicit-def: $vgpr90_vgpr91
                                        ; implicit-def: $vgpr98_vgpr99
                                        ; implicit-def: $vgpr94_vgpr95
                                        ; implicit-def: $vgpr82_vgpr83
	s_xor_b64 exec, exec, s[4:5]
	s_cbranch_execz .LBB0_13
; %bb.12:
	s_add_u32 s0, s16, s6
	s_mov_b32 s6, 0x20c49bb
	s_addc_u32 s1, s17, s7
	v_mul_hi_u32 v1, v0, s6
	s_load_dwordx2 s[0:1], s[0:1], 0x0
	v_mul_u32_u24_e32 v1, 0x7d, v1
	v_sub_u32_e32 v134, v0, v1
	s_waitcnt lgkmcnt(0)
	v_mul_lo_u32 v8, s1, v102
	v_mad_u64_u32 v[0:1], s[6:7], s20, v134, 0
	v_mul_lo_u32 v9, s0, v103
	v_mad_u64_u32 v[2:3], s[0:1], s0, v102, 0
	v_add_u32_e32 v12, 0x753, v134
	v_add_u32_e32 v14, 0x9c4, v134
	v_mad_u64_u32 v[6:7], s[0:1], s21, v134, v[1:2]
	v_add3_u32 v3, v3, v9, v8
	v_lshlrev_b64 v[2:3], 4, v[2:3]
	v_mov_b32_e32 v1, v6
	v_mov_b32_e32 v6, s9
	v_add_co_u32_e64 v7, s[0:1], s8, v2
	v_add_u32_e32 v8, 0x271, v134
	v_addc_co_u32_e64 v6, s[0:1], v6, v3, s[0:1]
	v_lshlrev_b64 v[2:3], 4, v[4:5]
	v_mad_u64_u32 v[4:5], s[0:1], s20, v8, 0
	v_add_co_u32_e64 v10, s[0:1], v7, v2
	v_mov_b32_e32 v2, v5
	v_addc_co_u32_e64 v11, s[0:1], v6, v3, s[0:1]
	v_mad_u64_u32 v[2:3], s[0:1], s21, v8, v[2:3]
	v_add_u32_e32 v8, 0x4e2, v134
	v_mad_u64_u32 v[6:7], s[0:1], s20, v8, 0
	v_lshlrev_b64 v[0:1], 4, v[0:1]
	v_mov_b32_e32 v5, v2
	v_add_co_u32_e64 v0, s[0:1], v10, v0
	v_lshlrev_b64 v[2:3], 4, v[4:5]
	v_mov_b32_e32 v4, v7
	v_addc_co_u32_e64 v1, s[0:1], v11, v1, s[0:1]
	v_mad_u64_u32 v[4:5], s[0:1], s21, v8, v[4:5]
	v_mad_u64_u32 v[8:9], s[0:1], s20, v12, 0
	v_mov_b32_e32 v7, v4
	v_add_co_u32_e64 v2, s[0:1], v10, v2
	v_lshlrev_b64 v[4:5], 4, v[6:7]
	v_mov_b32_e32 v6, v9
	v_addc_co_u32_e64 v3, s[0:1], v11, v3, s[0:1]
	v_mad_u64_u32 v[6:7], s[0:1], s21, v12, v[6:7]
	v_mad_u64_u32 v[12:13], s[0:1], s20, v14, 0
	v_mov_b32_e32 v9, v6
	v_add_co_u32_e64 v4, s[0:1], v10, v4
	v_lshlrev_b64 v[6:7], 4, v[8:9]
	v_mov_b32_e32 v8, v13
	v_addc_co_u32_e64 v5, s[0:1], v11, v5, s[0:1]
	v_mad_u64_u32 v[8:9], s[0:1], s21, v14, v[8:9]
	v_add_u32_e32 v135, 0x7d, v134
	v_mad_u64_u32 v[14:15], s[0:1], s20, v135, 0
	v_mov_b32_e32 v13, v8
	v_add_co_u32_e64 v6, s[0:1], v10, v6
	v_lshlrev_b64 v[8:9], 4, v[12:13]
	v_mov_b32_e32 v12, v15
	v_addc_co_u32_e64 v7, s[0:1], v11, v7, s[0:1]
	v_mad_u64_u32 v[12:13], s[0:1], s21, v135, v[12:13]
	v_add_u32_e32 v18, 0x2ee, v134
	;; [unrolled: 8-line block ×13, first 2 shown]
	v_mad_u64_u32 v[38:39], s[0:1], s20, v35, 0
	v_add_co_u32_e64 v104, s[0:1], v10, v32
	v_mov_b32_e32 v37, v34
	v_mov_b32_e32 v34, v39
	v_addc_co_u32_e64 v105, s[0:1], v11, v33, s[0:1]
	v_lshlrev_b64 v[32:33], 4, v[36:37]
	v_mad_u64_u32 v[34:35], s[0:1], s21, v35, v[34:35]
	v_add_u32_e32 v37, 0x8ca, v134
	v_mad_u64_u32 v[35:36], s[0:1], s20, v37, 0
	v_add_co_u32_e64 v106, s[0:1], v10, v32
	v_mov_b32_e32 v39, v34
	v_mov_b32_e32 v34, v36
	v_addc_co_u32_e64 v107, s[0:1], v11, v33, s[0:1]
	v_lshlrev_b64 v[32:33], 4, v[38:39]
	v_mad_u64_u32 v[36:37], s[0:1], s21, v37, v[34:35]
	v_add_u32_e32 v39, 0xb3b, v134
	v_mad_u64_u32 v[37:38], s[0:1], s20, v39, 0
	v_add_co_u32_e64 v108, s[0:1], v10, v32
	v_mov_b32_e32 v34, v38
	v_addc_co_u32_e64 v109, s[0:1], v11, v33, s[0:1]
	v_lshlrev_b64 v[32:33], 4, v[35:36]
	v_mad_u64_u32 v[34:35], s[0:1], s21, v39, v[34:35]
	v_add_u32_e32 v138, 0x1f4, v134
	v_mad_u64_u32 v[35:36], s[0:1], s20, v138, 0
	v_add_co_u32_e64 v110, s[0:1], v10, v32
	v_mov_b32_e32 v38, v34
	v_mov_b32_e32 v34, v36
	v_addc_co_u32_e64 v111, s[0:1], v11, v33, s[0:1]
	v_lshlrev_b64 v[32:33], 4, v[37:38]
	v_mad_u64_u32 v[36:37], s[0:1], s21, v138, v[34:35]
	v_add_u32_e32 v39, 0x465, v134
	v_mad_u64_u32 v[37:38], s[0:1], s20, v39, 0
	v_add_co_u32_e64 v112, s[0:1], v10, v32
	v_mov_b32_e32 v34, v38
	v_addc_co_u32_e64 v113, s[0:1], v11, v33, s[0:1]
	v_lshlrev_b64 v[32:33], 4, v[35:36]
	v_mad_u64_u32 v[34:35], s[0:1], s21, v39, v[34:35]
	v_add_u32_e32 v39, 0x6d6, v134
	v_mad_u64_u32 v[35:36], s[0:1], s20, v39, 0
	v_add_co_u32_e64 v114, s[0:1], v10, v32
	v_mov_b32_e32 v38, v34
	v_mov_b32_e32 v34, v36
	v_addc_co_u32_e64 v115, s[0:1], v11, v33, s[0:1]
	v_lshlrev_b64 v[32:33], 4, v[37:38]
	v_mad_u64_u32 v[36:37], s[0:1], s21, v39, v[34:35]
	v_add_u32_e32 v39, 0x947, v134
	v_mad_u64_u32 v[37:38], s[0:1], s20, v39, 0
	v_add_co_u32_e64 v116, s[0:1], v10, v32
	v_mov_b32_e32 v34, v38
	v_addc_co_u32_e64 v117, s[0:1], v11, v33, s[0:1]
	v_lshlrev_b64 v[32:33], 4, v[35:36]
	v_mad_u64_u32 v[34:35], s[0:1], s21, v39, v[34:35]
	v_add_u32_e32 v39, 0xbb8, v134
	v_mad_u64_u32 v[35:36], s[0:1], s20, v39, 0
	v_add_co_u32_e64 v118, s[0:1], v10, v32
	v_mov_b32_e32 v38, v34
	v_mov_b32_e32 v34, v36
	v_addc_co_u32_e64 v119, s[0:1], v11, v33, s[0:1]
	v_lshlrev_b64 v[32:33], 4, v[37:38]
	v_mad_u64_u32 v[36:37], s[0:1], s21, v39, v[34:35]
	v_add_co_u32_e64 v120, s[0:1], v10, v32
	v_addc_co_u32_e64 v121, s[0:1], v11, v33, s[0:1]
	v_lshlrev_b64 v[32:33], 4, v[35:36]
	v_add_co_u32_e64 v122, s[0:1], v10, v32
	v_addc_co_u32_e64 v123, s[0:1], v11, v33, s[0:1]
	global_load_dwordx4 v[80:83], v[0:1], off
	global_load_dwordx4 v[92:95], v[2:3], off
	;; [unrolled: 1-line block ×15, first 2 shown]
                                        ; kill: killed $vgpr12 killed $vgpr13
                                        ; kill: killed $vgpr14 killed $vgpr15
                                        ; kill: killed $vgpr22 killed $vgpr23
                                        ; kill: killed $vgpr0 killed $vgpr1
                                        ; kill: killed $vgpr16 killed $vgpr17
                                        ; kill: killed $vgpr24 killed $vgpr25
                                        ; kill: killed $vgpr2 killed $vgpr3
                                        ; kill: killed $vgpr18 killed $vgpr19
                                        ; kill: killed $vgpr26 killed $vgpr27
                                        ; kill: killed $vgpr4 killed $vgpr5
                                        ; kill: killed $vgpr20 killed $vgpr21
                                        ; kill: killed $vgpr28 killed $vgpr29
                                        ; kill: killed $vgpr6 killed $vgpr7
                                        ; kill: killed $vgpr30 killed $vgpr31
                                        ; kill: killed $vgpr8 killed $vgpr9
	s_nop 0
	global_load_dwordx4 v[20:23], v[104:105], off
	global_load_dwordx4 v[32:35], v[106:107], off
	;; [unrolled: 1-line block ×9, first 2 shown]
                                        ; kill: killed $vgpr118 killed $vgpr119
                                        ; kill: killed $vgpr112 killed $vgpr113
                                        ; kill: killed $vgpr120 killed $vgpr121
                                        ; kill: killed $vgpr104 killed $vgpr105
                                        ; kill: killed $vgpr106 killed $vgpr107
                                        ; kill: killed $vgpr114 killed $vgpr115
                                        ; kill: killed $vgpr108 killed $vgpr109
                                        ; kill: killed $vgpr116 killed $vgpr117
                                        ; kill: killed $vgpr110 killed $vgpr111
	global_load_dwordx4 v[12:15], v[122:123], off
.LBB0_13:
	s_or_b64 exec, exec, s[4:5]
	s_waitcnt vmcnt(23)
	v_add_f64 v[106:107], v[92:93], v[80:81]
	v_add_f64 v[108:109], v[94:95], v[82:83]
	s_waitcnt vmcnt(21)
	v_add_f64 v[110:111], v[88:89], v[96:97]
	v_add_f64 v[124:125], v[98:99], -v[90:91]
	v_add_f64 v[126:127], v[92:93], -v[96:97]
	;; [unrolled: 1-line block ×3, first 2 shown]
	v_add_f64 v[112:113], v[90:91], v[98:99]
	v_add_f64 v[104:105], v[96:97], -v[88:89]
	v_add_f64 v[114:115], v[96:97], v[106:107]
	v_add_f64 v[108:109], v[98:99], v[108:109]
	v_add_f64 v[106:107], v[94:95], -v[98:99]
	v_add_f64 v[96:97], v[98:99], -v[94:95]
	s_waitcnt vmcnt(20)
	v_add_f64 v[130:131], v[94:95], -v[86:87]
	v_add_f64 v[98:99], v[84:85], v[92:93]
	v_add_f64 v[116:117], v[86:87], v[94:95]
	v_add_f64 v[132:133], v[84:85], -v[88:89]
	v_add_f64 v[114:115], v[88:89], v[114:115]
	v_add_f64 v[108:109], v[90:91], v[108:109]
	v_add_f64 v[139:140], v[88:89], -v[84:85]
	v_add_f64 v[94:95], v[86:87], -v[90:91]
	;; [unrolled: 1-line block ×3, first 2 shown]
	s_waitcnt vmcnt(18)
	v_add_f64 v[90:91], v[72:73], v[60:61]
	v_add_f64 v[118:119], v[74:75], v[62:63]
	v_fma_f64 v[145:146], v[98:99], -0.5, v[80:81]
	v_add_f64 v[92:93], v[92:93], -v[84:85]
	v_add_f64 v[141:142], v[84:85], v[114:115]
	v_add_f64 v[84:85], v[86:87], v[108:109]
	v_fma_f64 v[143:144], v[110:111], -0.5, v[80:81]
	s_waitcnt vmcnt(16)
	v_add_f64 v[108:109], v[68:69], v[76:77]
	v_add_f64 v[90:91], v[76:77], v[90:91]
	;; [unrolled: 1-line block ×3, first 2 shown]
	v_add_f64 v[147:148], v[78:79], -v[70:71]
	v_add_f64 v[149:150], v[72:73], -v[76:77]
	;; [unrolled: 1-line block ×3, first 2 shown]
	v_add_f64 v[110:111], v[70:71], v[78:79]
	v_add_f64 v[76:77], v[76:77], -v[68:69]
	v_add_f64 v[80:81], v[74:75], -v[78:79]
	;; [unrolled: 1-line block ×3, first 2 shown]
	s_waitcnt vmcnt(15)
	v_add_f64 v[153:154], v[74:75], -v[66:67]
	v_add_f64 v[114:115], v[66:67], v[74:75]
	v_add_f64 v[90:91], v[68:69], v[90:91]
	;; [unrolled: 1-line block ×3, first 2 shown]
	v_add_f64 v[155:156], v[64:65], -v[68:69]
	v_add_f64 v[157:158], v[68:69], -v[64:65]
	;; [unrolled: 1-line block ×4, first 2 shown]
	s_waitcnt vmcnt(13)
	v_add_f64 v[70:71], v[52:53], v[40:41]
	v_fma_f64 v[86:87], v[112:113], -0.5, v[82:83]
	v_fma_f64 v[82:83], v[116:117], -0.5, v[82:83]
	v_add_f64 v[112:113], v[64:65], v[72:73]
	v_add_f64 v[116:117], v[54:55], v[42:43]
	;; [unrolled: 1-line block ×3, first 2 shown]
	v_fma_f64 v[161:162], v[108:109], -0.5, v[60:61]
	s_waitcnt vmcnt(11)
	v_add_f64 v[108:109], v[50:51], v[58:59]
	v_add_f64 v[70:71], v[56:57], v[70:71]
	s_waitcnt vmcnt(8)
	v_add_f64 v[118:119], v[34:35], v[22:23]
	v_add_f64 v[72:73], v[72:73], -v[64:65]
	v_fma_f64 v[163:164], v[112:113], -0.5, v[60:61]
	v_fma_f64 v[60:61], v[114:115], -0.5, v[62:63]
	v_add_f64 v[90:91], v[58:59], v[116:117]
	v_add_f64 v[112:113], v[46:47], v[54:55]
	;; [unrolled: 1-line block ×5, first 2 shown]
	v_fma_f64 v[66:67], v[110:111], -0.5, v[62:63]
	v_add_f64 v[98:99], v[48:49], v[56:57]
	v_add_f64 v[167:168], v[52:53], -v[56:57]
	v_add_f64 v[169:170], v[56:57], -v[52:53]
	;; [unrolled: 1-line block ×3, first 2 shown]
	v_add_f64 v[110:111], v[44:45], v[52:53]
	v_add_f64 v[52:53], v[52:53], -v[44:45]
	v_add_f64 v[90:91], v[50:51], v[90:91]
	v_add_f64 v[173:174], v[44:45], -v[48:49]
	v_add_f64 v[48:49], v[48:49], -v[44:45]
	v_add_f64 v[44:45], v[44:45], v[114:115]
	v_fma_f64 v[114:115], v[108:109], -0.5, v[42:43]
	v_fma_f64 v[112:113], v[112:113], -0.5, v[42:43]
	s_waitcnt vmcnt(7)
	v_add_f64 v[42:43], v[36:37], v[116:117]
	v_add_f64 v[116:117], v[38:39], v[118:119]
	v_add_f64 v[165:166], v[58:59], -v[50:51]
	v_add_f64 v[62:63], v[54:55], -v[58:59]
	;; [unrolled: 1-line block ×6, first 2 shown]
	v_add_f64 v[50:51], v[46:47], v[90:91]
	v_fma_f64 v[46:47], v[98:99], -0.5, v[40:41]
	v_fma_f64 v[40:41], v[110:111], -0.5, v[40:41]
	s_waitcnt vmcnt(6)
	v_add_f64 v[122:123], v[28:29], v[36:37]
	v_add_f64 v[175:176], v[38:39], -v[30:31]
	v_add_f64 v[177:178], v[32:33], -v[36:37]
	;; [unrolled: 1-line block ×3, first 2 shown]
	v_add_f64 v[181:182], v[30:31], v[38:39]
	v_add_f64 v[90:91], v[36:37], -v[28:29]
	v_add_f64 v[98:99], v[34:35], -v[38:39]
	;; [unrolled: 1-line block ×3, first 2 shown]
	s_waitcnt vmcnt(5)
	v_add_f64 v[36:37], v[34:35], -v[26:27]
	v_add_f64 v[38:39], v[24:25], v[32:33]
	v_add_f64 v[108:109], v[32:33], -v[24:25]
	v_add_f64 v[32:33], v[26:27], v[34:35]
	v_add_f64 v[34:35], v[28:29], v[42:43]
	;; [unrolled: 1-line block ×3, first 2 shown]
	v_add_f64 v[118:119], v[26:27], -v[30:31]
	v_add_f64 v[116:117], v[30:31], -v[26:27]
	s_waitcnt vmcnt(3)
	v_add_f64 v[30:31], v[8:9], v[0:1]
	v_add_f64 v[185:186], v[10:11], v[2:3]
	v_fma_f64 v[181:182], v[181:182], -0.5, v[22:23]
	v_fma_f64 v[187:188], v[32:33], -0.5, v[22:23]
	v_add_f64 v[183:184], v[24:25], -v[28:29]
	v_add_f64 v[28:29], v[28:29], -v[24:25]
	v_add_f64 v[24:25], v[24:25], v[34:35]
	v_add_f64 v[120:121], v[26:27], v[42:43]
	s_waitcnt vmcnt(2)
	v_add_f64 v[22:23], v[16:17], v[30:31]
	v_add_f64 v[30:31], v[18:19], v[185:186]
	v_fma_f64 v[26:27], v[122:123], -0.5, v[20:21]
	v_fma_f64 v[20:21], v[38:39], -0.5, v[20:21]
	s_waitcnt vmcnt(1)
	v_add_f64 v[32:33], v[4:5], v[16:17]
	v_add_f64 v[34:35], v[18:19], -v[6:7]
	v_add_f64 v[38:39], v[8:9], -v[16:17]
	;; [unrolled: 1-line block ×3, first 2 shown]
	v_add_f64 v[185:186], v[6:7], v[18:19]
	v_add_f64 v[191:192], v[10:11], -v[18:19]
	v_add_f64 v[193:194], v[18:19], -v[10:11]
	s_waitcnt vmcnt(0)
	v_add_f64 v[18:19], v[12:13], v[8:9]
	v_add_f64 v[22:23], v[4:5], v[22:23]
	;; [unrolled: 1-line block ×3, first 2 shown]
	v_add_f64 v[195:196], v[8:9], -v[12:13]
	v_add_f64 v[8:9], v[14:15], v[10:11]
	s_mov_b32 s4, 0x134454ff
	s_mov_b32 s5, 0xbfee6f0e
	;; [unrolled: 1-line block ×4, first 2 shown]
	v_add_f64 v[189:190], v[16:17], -v[4:5]
	v_add_f64 v[16:17], v[10:11], -v[14:15]
	;; [unrolled: 1-line block ×6, first 2 shown]
	v_add_f64 v[6:7], v[12:13], v[22:23]
	v_add_f64 v[122:123], v[14:15], v[30:31]
	v_fma_f64 v[12:13], v[32:33], -0.5, v[0:1]
	v_fma_f64 v[0:1], v[18:19], -0.5, v[0:1]
	;; [unrolled: 1-line block ×3, first 2 shown]
	v_fma_f64 v[8:9], v[130:131], s[4:5], v[143:144]
	v_fma_f64 v[14:15], v[124:125], s[8:9], v[145:146]
	;; [unrolled: 1-line block ×4, first 2 shown]
	s_mov_b32 s14, 0x4755a5e
	s_mov_b32 s15, 0xbfe2cf23
	;; [unrolled: 1-line block ×4, first 2 shown]
	v_fma_f64 v[185:186], v[185:186], -0.5, v[2:3]
	v_add_f64 v[2:3], v[132:133], v[126:127]
	v_fma_f64 v[8:9], v[124:125], s[14:15], v[8:9]
	v_add_f64 v[30:31], v[139:140], v[128:129]
	v_fma_f64 v[14:15], v[130:131], s[14:15], v[14:15]
	v_fma_f64 v[18:19], v[130:131], s[16:17], v[18:19]
	;; [unrolled: 1-line block ×3, first 2 shown]
	s_mov_b32 s6, 0x372fe950
	s_mov_b32 s7, 0x3fd3c6ef
	v_fma_f64 v[32:33], v[153:154], s[4:5], v[161:162]
	v_fma_f64 v[8:9], v[2:3], s[6:7], v[8:9]
	;; [unrolled: 1-line block ×7, first 2 shown]
	v_mad_u32_u24 v128, v134, 40, 0
	v_add_f64 v[22:23], v[155:156], v[149:150]
	v_fma_f64 v[32:33], v[147:148], s[14:15], v[32:33]
	v_add_f64 v[126:127], v[157:158], v[151:152]
	v_fma_f64 v[124:125], v[153:154], s[14:15], v[124:125]
	ds_write2_b64 v128, v[141:142], v[8:9] offset1:1
	v_fma_f64 v[8:9], v[153:154], s[16:17], v[30:31]
	ds_write2_b64 v128, v[14:15], v[18:19] offset0:2 offset1:3
	ds_write_b64 v128, v[2:3] offset:32
	v_fma_f64 v[14:15], v[153:154], s[8:9], v[161:162]
	v_fma_f64 v[30:31], v[171:172], s[4:5], v[46:47]
	;; [unrolled: 1-line block ×10, first 2 shown]
	v_add_f64 v[124:125], v[173:174], v[167:168]
	v_fma_f64 v[30:31], v[165:166], s[14:15], v[30:31]
	v_add_f64 v[48:49], v[48:49], v[169:170]
	v_fma_f64 v[32:33], v[171:172], s[14:15], v[32:33]
	v_fma_f64 v[40:41], v[171:172], s[16:17], v[40:41]
	;; [unrolled: 1-line block ×4, first 2 shown]
	v_add_f64 v[22:23], v[183:184], v[177:178]
	v_fma_f64 v[46:47], v[165:166], s[16:17], v[46:47]
	v_mad_i32_i24 v139, v135, 40, 0
	ds_write2_b64 v139, v[159:160], v[2:3] offset1:1
	v_fma_f64 v[2:3], v[124:125], s[6:7], v[30:31]
	v_fma_f64 v[30:31], v[48:49], s[6:7], v[32:33]
	;; [unrolled: 1-line block ×3, first 2 shown]
	ds_write2_b64 v139, v[18:19], v[8:9] offset0:2 offset1:3
	ds_write_b64 v139, v[14:15] offset:32
	v_fma_f64 v[8:9], v[22:23], s[6:7], v[126:127]
	v_fma_f64 v[40:41], v[124:125], s[6:7], v[46:47]
	v_mad_i32_i24 v141, v136, 40, 0
	v_mad_i32_i24 v146, v137, 40, 0
	ds_write2_b64 v141, v[44:45], v[2:3] offset1:1
	ds_write2_b64 v141, v[30:31], v[32:33] offset0:2 offset1:3
	ds_write_b64 v141, v[40:41] offset:32
	v_fma_f64 v[14:15], v[175:176], s[8:9], v[20:21]
	ds_write2_b64 v146, v[24:25], v[8:9] offset1:1
	v_fma_f64 v[8:9], v[175:176], s[4:5], v[20:21]
	v_fma_f64 v[20:21], v[34:35], s[8:9], v[0:1]
	v_fma_f64 v[24:25], v[16:17], s[4:5], v[12:13]
	v_fma_f64 v[2:3], v[36:37], s[8:9], v[26:27]
	v_fma_f64 v[0:1], v[34:35], s[4:5], v[0:1]
	v_fma_f64 v[12:13], v[16:17], s[8:9], v[12:13]
	v_add_f64 v[18:19], v[28:29], v[179:180]
	v_fma_f64 v[14:15], v[36:37], s[14:15], v[14:15]
	v_fma_f64 v[8:9], v[36:37], s[16:17], v[8:9]
	v_add_f64 v[4:5], v[4:5], v[42:43]
	v_fma_f64 v[20:21], v[16:17], s[14:15], v[20:21]
	v_add_f64 v[10:11], v[10:11], v[38:39]
	v_fma_f64 v[24:25], v[34:35], s[14:15], v[24:25]
	v_fma_f64 v[2:3], v[175:176], s[16:17], v[2:3]
	;; [unrolled: 1-line block ×12, first 2 shown]
	v_mad_i32_i24 v147, v138, 40, 0
	s_load_dwordx2 s[18:19], s[18:19], 0x0
	ds_write2_b64 v146, v[14:15], v[8:9] offset0:2 offset1:3
	ds_write_b64 v146, v[2:3] offset:32
	ds_write2_b64 v147, v[6:7], v[20:21] offset1:1
	ds_write2_b64 v147, v[18:19], v[0:1] offset0:2 offset1:3
	ds_write_b64 v147, v[4:5] offset:32
	v_fma_f64 v[4:5], v[104:105], s[4:5], v[82:83]
	v_fma_f64 v[6:7], v[104:105], s[8:9], v[82:83]
	v_fma_f64 v[8:9], v[92:93], s[4:5], v[86:87]
	v_fma_f64 v[10:11], v[72:73], s[8:9], v[66:67]
	v_add_f64 v[94:95], v[94:95], v[106:107]
	v_fma_f64 v[16:17], v[104:105], s[16:17], v[26:27]
	v_add_f64 v[82:83], v[88:89], v[96:97]
	v_add_f64 v[74:75], v[74:75], v[80:81]
	v_fma_f64 v[86:87], v[92:93], s[16:17], v[4:5]
	v_fma_f64 v[88:89], v[92:93], s[14:15], v[6:7]
	v_fma_f64 v[92:93], v[104:105], s[14:15], v[8:9]
	v_fma_f64 v[80:81], v[76:77], s[16:17], v[10:11]
	v_fma_f64 v[66:67], v[72:73], s[4:5], v[66:67]
	v_fma_f64 v[106:107], v[94:95], s[6:7], v[16:17]
	v_lshlrev_b32_e32 v0, 5, v134
	v_sub_u32_e32 v140, v128, v0
	v_fma_f64 v[86:87], v[82:83], s[6:7], v[86:87]
	v_fma_f64 v[82:83], v[82:83], s[6:7], v[88:89]
	;; [unrolled: 1-line block ×4, first 2 shown]
	v_add_u32_e32 v151, 0x4800, v140
	v_lshlrev_b32_e32 v152, 5, v135
	v_add_u32_e32 v145, 0x2800, v140
	v_lshlrev_b32_e32 v153, 5, v136
	;; [unrolled: 2-line block ×3, first 2 shown]
	v_lshlrev_b32_e32 v157, 5, v138
	s_waitcnt lgkmcnt(0)
	s_barrier
	v_add_u32_e32 v142, 0x1000, v140
	v_add_u32_e32 v150, 0x2000, v140
	;; [unrolled: 1-line block ×3, first 2 shown]
	v_sub_u32_e32 v158, v139, v152
	v_add_u32_e32 v144, 0x5000, v140
	v_sub_u32_e32 v159, v141, v153
	v_add_u32_e32 v148, 0x4000, v140
	;; [unrolled: 2-line block ×3, first 2 shown]
	v_add_u32_e32 v154, 0x5800, v140
	v_sub_u32_e32 v161, v147, v157
	ds_read_b64 v[48:49], v140
	ds_read_b64 v[46:47], v158
	;; [unrolled: 1-line block ×5, first 2 shown]
	ds_read2_b64 v[20:23], v142 offset0:113 offset1:238
	ds_read2_b64 v[12:15], v150 offset0:101 offset1:226
	;; [unrolled: 1-line block ×10, first 2 shown]
	s_waitcnt lgkmcnt(0)
	s_barrier
	ds_write2_b64 v128, v[84:85], v[106:107] offset1:1
	ds_write2_b64 v128, v[86:87], v[82:83] offset0:2 offset1:3
	ds_write_b64 v128, v[88:89] offset:32
	ds_write2_b64 v139, v[64:65], v[80:81] offset1:1
	v_fma_f64 v[64:65], v[76:77], s[4:5], v[60:61]
	v_fma_f64 v[60:61], v[76:77], s[8:9], v[60:61]
	;; [unrolled: 1-line block ×5, first 2 shown]
	v_add_f64 v[68:69], v[68:69], v[78:79]
	v_fma_f64 v[78:79], v[56:57], s[4:5], v[112:113]
	v_fma_f64 v[82:83], v[56:57], s[8:9], v[112:113]
	;; [unrolled: 1-line block ×4, first 2 shown]
	v_add_f64 v[62:63], v[70:71], v[62:63]
	v_fma_f64 v[70:71], v[56:57], s[16:17], v[76:77]
	v_fma_f64 v[56:57], v[56:57], s[14:15], v[80:81]
	v_add_f64 v[54:55], v[54:55], v[58:59]
	v_fma_f64 v[58:59], v[52:53], s[16:17], v[78:79]
	v_fma_f64 v[52:53], v[52:53], s[14:15], v[82:83]
	v_fma_f64 v[64:65], v[68:69], s[6:7], v[64:65]
	v_fma_f64 v[60:61], v[68:69], s[6:7], v[60:61]
	v_fma_f64 v[66:67], v[74:75], s[6:7], v[66:67]
	v_fma_f64 v[68:69], v[62:63], s[6:7], v[70:71]
	v_fma_f64 v[70:71], v[108:109], s[8:9], v[181:182]
	v_fma_f64 v[72:73], v[108:109], s[4:5], v[181:182]
	v_fma_f64 v[56:57], v[62:63], s[6:7], v[56:57]
	v_fma_f64 v[62:63], v[90:91], s[4:5], v[187:188]
	v_fma_f64 v[74:75], v[90:91], s[8:9], v[187:188]
	v_fma_f64 v[76:77], v[195:196], s[8:9], v[185:186]
	v_fma_f64 v[78:79], v[195:196], s[4:5], v[185:186]
	v_fma_f64 v[82:83], v[189:190], s[4:5], v[201:202]
	v_fma_f64 v[84:85], v[189:190], s[8:9], v[201:202]
	v_fma_f64 v[58:59], v[54:55], s[6:7], v[58:59]
	v_fma_f64 v[52:53], v[54:55], s[6:7], v[52:53]
	v_add_f64 v[54:55], v[118:119], v[98:99]
	v_fma_f64 v[70:71], v[90:91], s[16:17], v[70:71]
	v_fma_f64 v[72:73], v[90:91], s[14:15], v[72:73]
	v_add_f64 v[80:81], v[116:117], v[110:111]
	v_fma_f64 v[62:63], v[108:109], s[16:17], v[62:63]
	v_fma_f64 v[74:75], v[108:109], s[14:15], v[74:75]
	;; [unrolled: 3-line block ×4, first 2 shown]
	v_fma_f64 v[70:71], v[54:55], s[6:7], v[70:71]
	v_fma_f64 v[54:55], v[54:55], s[6:7], v[72:73]
	;; [unrolled: 1-line block ×4, first 2 shown]
	s_movk_i32 s0, 0xcd
	v_fma_f64 v[74:75], v[86:87], s[6:7], v[76:77]
	v_fma_f64 v[76:77], v[86:87], s[6:7], v[78:79]
	;; [unrolled: 1-line block ×4, first 2 shown]
	ds_write2_b64 v139, v[64:65], v[60:61] offset0:2 offset1:3
	ds_write_b64 v139, v[66:67] offset:32
	ds_write2_b64 v141, v[50:51], v[68:69] offset1:1
	ds_write2_b64 v141, v[58:59], v[52:53] offset0:2 offset1:3
	ds_write_b64 v141, v[56:57] offset:32
	ds_write2_b64 v146, v[120:121], v[70:71] offset1:1
	;; [unrolled: 3-line block ×3, first 2 shown]
	ds_write2_b64 v147, v[78:79], v[80:81] offset0:2 offset1:3
	ds_write_b64 v147, v[76:77] offset:32
	v_mul_lo_u16_sdwa v50, v134, s0 dst_sel:DWORD dst_unused:UNUSED_PAD src0_sel:BYTE_0 src1_sel:DWORD
	v_lshrrev_b16_e32 v118, 10, v50
	v_mul_lo_u16_e32 v50, 5, v118
	v_sub_u16_e32 v119, v134, v50
	v_mov_b32_e32 v126, 6
	v_lshlrev_b32_sdwa v70, v126, v119 dst_sel:DWORD dst_unused:UNUSED_PAD src0_sel:DWORD src1_sel:BYTE_0
	s_waitcnt lgkmcnt(0)
	s_barrier
	global_load_dwordx4 v[50:53], v70, s[12:13]
	v_mul_lo_u16_sdwa v54, v135, s0 dst_sel:DWORD dst_unused:UNUSED_PAD src0_sel:BYTE_0 src1_sel:DWORD
	v_lshrrev_b16_e32 v128, 10, v54
	v_mul_lo_u16_e32 v54, 5, v128
	v_sub_u16_e32 v127, v135, v54
	v_lshlrev_b32_sdwa v71, v126, v127 dst_sel:DWORD dst_unused:UNUSED_PAD src0_sel:DWORD src1_sel:BYTE_0
	global_load_dwordx4 v[54:57], v71, s[12:13]
	global_load_dwordx4 v[58:61], v70, s[12:13] offset:32
	global_load_dwordx4 v[62:65], v71, s[12:13] offset:16
	s_mov_b32 s0, 0xcccd
	v_mul_u32_u24_sdwa v66, v136, s0 dst_sel:DWORD dst_unused:UNUSED_PAD src0_sel:WORD_0 src1_sel:DWORD
	v_lshrrev_b32_e32 v131, 18, v66
	global_load_dwordx4 v[66:69], v71, s[12:13] offset:32
	v_mul_lo_u16_e32 v72, 5, v131
	v_sub_u16_e32 v129, v136, v72
	v_lshlrev_b32_e32 v80, 6, v129
	global_load_dwordx4 v[72:75], v80, s[12:13] offset:16
	global_load_dwordx4 v[76:79], v71, s[12:13] offset:48
	global_load_dwordx4 v[106:109], v80, s[12:13]
	global_load_dwordx4 v[110:113], v80, s[12:13] offset:48
	v_mul_u32_u24_sdwa v71, v137, s0 dst_sel:DWORD dst_unused:UNUSED_PAD src0_sel:WORD_0 src1_sel:DWORD
	v_lshrrev_b32_e32 v163, 18, v71
	v_mul_lo_u16_e32 v71, 5, v163
	v_sub_u16_e32 v162, v137, v71
	v_lshlrev_b32_e32 v86, 6, v162
	global_load_dwordx4 v[114:117], v86, s[12:13]
	global_load_dwordx4 v[120:123], v80, s[12:13] offset:32
	global_load_dwordx4 v[164:167], v86, s[12:13] offset:32
	;; [unrolled: 1-line block ×3, first 2 shown]
	v_mul_u32_u24_sdwa v71, v138, s0 dst_sel:DWORD dst_unused:UNUSED_PAD src0_sel:WORD_0 src1_sel:DWORD
	v_lshrrev_b32_e32 v132, 18, v71
	v_mul_lo_u16_e32 v71, 5, v132
	v_sub_u16_e32 v133, v138, v71
	v_lshlrev_b32_e32 v87, 6, v133
	global_load_dwordx4 v[172:175], v87, s[12:13]
	global_load_dwordx4 v[176:179], v86, s[12:13] offset:16
	global_load_dwordx4 v[180:183], v70, s[12:13] offset:48
	;; [unrolled: 1-line block ×6, first 2 shown]
	ds_read2_b64 v[80:83], v142 offset0:113 offset1:238
	ds_read2_b64 v[88:91], v143 offset0:83 offset1:208
	v_mov_b32_e32 v130, 3
	s_movk_i32 s0, 0x47af
	s_waitcnt vmcnt(19) lgkmcnt(1)
	v_mul_f64 v[70:71], v[80:81], v[52:53]
	v_mul_f64 v[52:53], v[20:21], v[52:53]
	s_waitcnt vmcnt(18)
	v_mul_f64 v[84:85], v[82:83], v[56:57]
	v_mul_f64 v[56:57], v[22:23], v[56:57]
	s_waitcnt vmcnt(17) lgkmcnt(0)
	v_mul_f64 v[92:93], v[88:89], v[60:61]
	v_mul_f64 v[60:61], v[16:17], v[60:61]
	v_fma_f64 v[104:105], v[20:21], v[50:51], v[70:71]
	v_fma_f64 v[20:21], v[80:81], v[50:51], -v[52:53]
	ds_read2_b64 v[50:53], v145 offset0:95 offset1:220
	s_waitcnt vmcnt(15)
	v_mul_f64 v[70:71], v[90:91], v[68:69]
	v_fma_f64 v[86:87], v[22:23], v[54:55], v[84:85]
	v_fma_f64 v[82:83], v[82:83], v[54:55], -v[56:57]
	ds_read2_b64 v[54:57], v144 offset0:65 offset1:190
	s_waitcnt lgkmcnt(1)
	v_mul_f64 v[80:81], v[50:51], v[64:65]
	s_waitcnt vmcnt(14)
	v_mul_f64 v[96:97], v[52:53], v[74:75]
	v_fma_f64 v[22:23], v[16:17], v[58:59], v[92:93]
	v_mul_f64 v[68:69], v[18:19], v[68:69]
	v_fma_f64 v[92:93], v[18:19], v[66:67], v[70:71]
	s_waitcnt vmcnt(13) lgkmcnt(0)
	v_mul_f64 v[18:19], v[54:55], v[78:79]
	v_mul_f64 v[64:65], v[36:37], v[64:65]
	;; [unrolled: 1-line block ×3, first 2 shown]
	v_fma_f64 v[94:95], v[36:37], v[62:63], v[80:81]
	v_fma_f64 v[70:71], v[38:39], v[72:73], v[96:97]
	ds_read2_b64 v[36:39], v149 offset0:107 offset1:232
	v_fma_f64 v[16:17], v[88:89], v[58:59], -v[60:61]
	v_fma_f64 v[84:85], v[90:91], v[66:67], -v[68:69]
	v_fma_f64 v[96:97], v[28:29], v[76:77], v[18:19]
	v_fma_f64 v[90:91], v[50:51], v[62:63], -v[64:65]
	s_waitcnt vmcnt(12) lgkmcnt(0)
	v_mul_f64 v[18:19], v[36:37], v[108:109]
	v_mul_f64 v[58:59], v[28:29], v[78:79]
	s_waitcnt vmcnt(11)
	v_mul_f64 v[60:61], v[56:57], v[112:113]
	v_mul_f64 v[62:63], v[30:31], v[112:113]
	;; [unrolled: 1-line block ×3, first 2 shown]
	v_fma_f64 v[68:69], v[52:53], v[72:73], -v[74:75]
	ds_read2_b64 v[50:53], v148 offset0:77 offset1:202
	s_waitcnt vmcnt(10)
	v_mul_f64 v[64:65], v[38:39], v[116:117]
	v_fma_f64 v[78:79], v[32:33], v[106:107], v[18:19]
	s_waitcnt vmcnt(9)
	v_mul_f64 v[18:19], v[24:25], v[122:123]
	v_fma_f64 v[88:89], v[54:55], v[76:77], -v[58:59]
	v_fma_f64 v[76:77], v[30:31], v[110:111], v[60:61]
	v_fma_f64 v[58:59], v[56:57], v[110:111], -v[62:63]
	v_mul_f64 v[54:55], v[34:35], v[116:117]
	s_waitcnt lgkmcnt(0)
	v_mul_f64 v[56:57], v[50:51], v[122:123]
	v_fma_f64 v[72:73], v[36:37], v[106:107], -v[28:29]
	ds_read2_b64 v[28:31], v150 offset0:101 offset1:226
	s_waitcnt vmcnt(8)
	v_mul_f64 v[32:33], v[52:53], v[166:167]
	v_fma_f64 v[60:61], v[34:35], v[114:115], v[64:65]
	v_mul_f64 v[34:35], v[26:27], v[166:167]
	v_fma_f64 v[74:75], v[50:51], v[120:121], -v[18:19]
	s_waitcnt vmcnt(7) lgkmcnt(0)
	v_mul_f64 v[36:37], v[30:31], v[170:171]
	s_waitcnt vmcnt(6)
	v_mul_f64 v[64:65], v[28:29], v[174:175]
	v_mul_f64 v[50:51], v[12:13], v[174:175]
	v_fma_f64 v[54:55], v[38:39], v[114:115], -v[54:55]
	v_fma_f64 v[80:81], v[24:25], v[120:121], v[56:57]
	v_mul_f64 v[38:39], v[14:15], v[170:171]
	v_fma_f64 v[62:63], v[26:27], v[164:165], v[32:33]
	ds_read2_b64 v[24:27], v155 offset0:89 offset1:214
	v_fma_f64 v[56:57], v[52:53], v[164:165], -v[34:35]
	v_fma_f64 v[14:15], v[14:15], v[168:169], v[36:37]
	v_fma_f64 v[52:53], v[12:13], v[172:173], v[64:65]
	v_fma_f64 v[50:51], v[28:29], v[172:173], -v[50:51]
	s_waitcnt vmcnt(5) lgkmcnt(0)
	v_mul_f64 v[12:13], v[24:25], v[178:179]
	s_waitcnt vmcnt(4)
	v_mul_f64 v[28:29], v[2:3], v[182:183]
	v_fma_f64 v[18:19], v[30:31], v[168:169], -v[38:39]
	ds_read2_b64 v[30:33], v151 offset0:71 offset1:196
	v_mul_f64 v[34:35], v[8:9], v[178:179]
	s_waitcnt vmcnt(3)
	v_mul_f64 v[38:39], v[10:11], v[186:187]
	v_mul_f64 v[36:37], v[26:27], v[186:187]
	s_waitcnt lgkmcnt(0)
	v_mul_f64 v[106:107], v[32:33], v[182:183]
	v_fma_f64 v[66:67], v[8:9], v[176:177], v[12:13]
	v_add_f64 v[12:13], v[14:15], v[22:23]
	v_fma_f64 v[165:166], v[32:33], v[180:181], -v[28:29]
	s_waitcnt vmcnt(2)
	v_mul_f64 v[110:111], v[30:31], v[190:191]
	v_fma_f64 v[64:65], v[24:25], v[176:177], -v[34:35]
	v_fma_f64 v[98:99], v[26:27], v[184:185], -v[38:39]
	v_add_f64 v[24:25], v[48:49], v[104:105]
	v_fma_f64 v[2:3], v[2:3], v[180:181], v[106:107]
	v_fma_f64 v[108:109], v[10:11], v[184:185], v[36:37]
	v_fma_f64 v[12:13], v[12:13], -0.5, v[48:49]
	v_add_f64 v[26:27], v[20:21], -v[165:166]
	ds_read2_b64 v[8:11], v154 offset0:59 offset1:184
	v_fma_f64 v[110:111], v[0:1], v[188:189], v[110:111]
	v_mul_f64 v[0:1], v[0:1], v[190:191]
	s_waitcnt vmcnt(1)
	v_mul_f64 v[32:33], v[4:5], v[194:195]
	v_add_f64 v[36:37], v[104:105], -v[14:15]
	s_waitcnt lgkmcnt(0)
	v_mul_f64 v[28:29], v[8:9], v[194:195]
	s_waitcnt vmcnt(0)
	v_mul_f64 v[34:35], v[10:11], v[198:199]
	v_add_f64 v[38:39], v[2:3], -v[22:23]
	v_add_f64 v[24:25], v[24:25], v[14:15]
	v_fma_f64 v[112:113], v[26:27], s[4:5], v[12:13]
	v_add_f64 v[167:168], v[18:19], -v[16:17]
	v_fma_f64 v[106:107], v[30:31], v[188:189], -v[0:1]
	v_mul_f64 v[0:1], v[6:7], v[198:199]
	v_fma_f64 v[120:121], v[4:5], v[192:193], v[28:29]
	v_fma_f64 v[116:117], v[8:9], v[192:193], -v[32:33]
	v_fma_f64 v[114:115], v[6:7], v[196:197], v[34:35]
	v_add_f64 v[4:5], v[36:37], v[38:39]
	v_add_f64 v[6:7], v[24:25], v[22:23]
	v_fma_f64 v[8:9], v[167:168], s[14:15], v[112:113]
	v_add_f64 v[24:25], v[104:105], v[2:3]
	v_fma_f64 v[112:113], v[10:11], v[196:197], -v[0:1]
	v_mul_u32_u24_e32 v0, 0xc8, v118
	v_lshlrev_b32_sdwa v1, v130, v119 dst_sel:DWORD dst_unused:UNUSED_PAD src0_sel:DWORD src1_sel:BYTE_0
	v_add3_u32 v164, 0, v0, v1
	v_add_f64 v[28:29], v[22:23], -v[2:3]
	v_add_f64 v[0:1], v[6:7], v[2:3]
	v_fma_f64 v[6:7], v[4:5], s[6:7], v[8:9]
	v_fma_f64 v[8:9], v[24:25], -0.5, v[48:49]
	v_add_f64 v[24:25], v[14:15], -v[104:105]
	v_add_f64 v[30:31], v[94:95], v[92:93]
	v_fma_f64 v[12:13], v[26:27], s[8:9], v[12:13]
	v_add_f64 v[34:35], v[82:83], -v[88:89]
	v_add_f64 v[36:37], v[86:87], -v[94:95]
	;; [unrolled: 1-line block ×3, first 2 shown]
	ds_read_b64 v[10:11], v140
	ds_read_b64 v[169:170], v158
	;; [unrolled: 1-line block ×5, first 2 shown]
	v_fma_f64 v[32:33], v[167:168], s[8:9], v[8:9]
	v_fma_f64 v[8:9], v[167:168], s[4:5], v[8:9]
	v_add_f64 v[24:25], v[24:25], v[28:29]
	v_add_f64 v[28:29], v[46:47], v[86:87]
	v_fma_f64 v[30:31], v[30:31], -0.5, v[46:47]
	v_fma_f64 v[12:13], v[167:168], s[16:17], v[12:13]
	v_add_f64 v[167:168], v[90:91], -v[84:85]
	s_waitcnt lgkmcnt(0)
	v_fma_f64 v[32:33], v[26:27], s[14:15], v[32:33]
	v_fma_f64 v[8:9], v[26:27], s[16:17], v[8:9]
	v_add_f64 v[26:27], v[86:87], v[96:97]
	v_add_f64 v[28:29], v[28:29], v[94:95]
	v_fma_f64 v[48:49], v[34:35], s[4:5], v[30:31]
	s_barrier
	ds_write2_b64 v164, v[0:1], v[6:7] offset1:5
	v_fma_f64 v[0:1], v[24:25], s[6:7], v[32:33]
	v_fma_f64 v[8:9], v[24:25], s[6:7], v[8:9]
	v_fma_f64 v[6:7], v[26:27], -0.5, v[46:47]
	v_fma_f64 v[4:5], v[4:5], s[6:7], v[12:13]
	v_add_f64 v[12:13], v[36:37], v[38:39]
	v_add_f64 v[24:25], v[28:29], v[92:93]
	v_fma_f64 v[26:27], v[167:168], s[14:15], v[48:49]
	v_add_f64 v[28:29], v[94:95], -v[86:87]
	v_add_f64 v[32:33], v[92:93], -v[96:97]
	ds_write2_b64 v164, v[0:1], v[8:9] offset0:10 offset1:15
	ds_write_b64 v164, v[4:5] offset:160
	v_fma_f64 v[36:37], v[167:168], s[8:9], v[6:7]
	v_fma_f64 v[4:5], v[167:168], s[4:5], v[6:7]
	v_add_f64 v[0:1], v[24:25], v[96:97]
	v_fma_f64 v[6:7], v[12:13], s[6:7], v[26:27]
	v_mul_u32_u24_e32 v38, 0xc8, v128
	v_add_f64 v[8:9], v[28:29], v[32:33]
	v_lshlrev_b32_sdwa v28, v130, v127 dst_sel:DWORD dst_unused:UNUSED_PAD src0_sel:DWORD src1_sel:BYTE_0
	v_add3_u32 v127, 0, v38, v28
	v_fma_f64 v[24:25], v[34:35], s[14:15], v[36:37]
	v_add_f64 v[26:27], v[70:71], v[80:81]
	v_fma_f64 v[28:29], v[34:35], s[8:9], v[30:31]
	v_fma_f64 v[4:5], v[34:35], s[16:17], v[4:5]
	ds_write2_b64 v127, v[0:1], v[6:7] offset1:5
	v_add_f64 v[0:1], v[78:79], v[76:77]
	v_add_f64 v[30:31], v[72:73], -v[58:59]
	v_add_f64 v[32:33], v[78:79], -v[70:71]
	v_fma_f64 v[6:7], v[8:9], s[6:7], v[24:25]
	v_add_f64 v[24:25], v[44:45], v[78:79]
	v_fma_f64 v[26:27], v[26:27], -0.5, v[44:45]
	v_fma_f64 v[28:29], v[167:168], s[16:17], v[28:29]
	v_fma_f64 v[4:5], v[8:9], s[6:7], v[4:5]
	v_add_f64 v[8:9], v[68:69], -v[74:75]
	v_fma_f64 v[0:1], v[0:1], -0.5, v[44:45]
	v_add_f64 v[34:35], v[76:77], -v[80:81]
	v_add_f64 v[38:39], v[80:81], -v[76:77]
	v_add_f64 v[24:25], v[24:25], v[70:71]
	v_fma_f64 v[36:37], v[30:31], s[4:5], v[26:27]
	v_fma_f64 v[12:13], v[12:13], s[6:7], v[28:29]
	v_add_f64 v[28:29], v[70:71], -v[78:79]
	ds_write2_b64 v127, v[6:7], v[4:5] offset0:10 offset1:15
	ds_write_b64 v127, v[12:13] offset:160
	v_fma_f64 v[44:45], v[8:9], s[8:9], v[0:1]
	v_fma_f64 v[0:1], v[8:9], s[4:5], v[0:1]
	v_add_f64 v[32:33], v[32:33], v[34:35]
	v_add_f64 v[24:25], v[24:25], v[80:81]
	v_fma_f64 v[34:35], v[8:9], s[14:15], v[36:37]
	v_add_f64 v[4:5], v[28:29], v[38:39]
	v_fma_f64 v[26:27], v[30:31], s[8:9], v[26:27]
	;; [unrolled: 2-line block ×3, first 2 shown]
	v_fma_f64 v[0:1], v[30:31], s[16:17], v[0:1]
	v_mul_u32_u24_e32 v36, 0xc8, v131
	v_add_f64 v[12:13], v[24:25], v[76:77]
	v_fma_f64 v[24:25], v[32:33], s[6:7], v[34:35]
	v_lshlrev_b32_e32 v30, 3, v129
	v_add3_u32 v128, 0, v36, v30
	v_fma_f64 v[8:9], v[8:9], s[16:17], v[26:27]
	v_fma_f64 v[6:7], v[4:5], s[6:7], v[6:7]
	;; [unrolled: 1-line block ×3, first 2 shown]
	v_add_f64 v[4:5], v[60:61], v[120:121]
	v_add_f64 v[26:27], v[54:55], -v[116:117]
	ds_write2_b64 v128, v[12:13], v[24:25] offset1:5
	v_add_f64 v[12:13], v[42:43], v[60:61]
	v_fma_f64 v[24:25], v[28:29], -0.5, v[42:43]
	v_add_f64 v[28:29], v[120:121], -v[62:63]
	v_fma_f64 v[8:9], v[32:33], s[6:7], v[8:9]
	ds_write2_b64 v128, v[6:7], v[0:1] offset0:10 offset1:15
	v_add_f64 v[0:1], v[64:65], -v[56:57]
	v_fma_f64 v[4:5], v[4:5], -0.5, v[42:43]
	v_add_f64 v[6:7], v[60:61], -v[66:67]
	v_add_f64 v[12:13], v[12:13], v[66:67]
	v_fma_f64 v[30:31], v[26:27], s[4:5], v[24:25]
	v_add_f64 v[32:33], v[66:67], -v[60:61]
	v_add_f64 v[34:35], v[62:63], -v[120:121]
	ds_write_b64 v128, v[8:9] offset:160
	v_fma_f64 v[24:25], v[26:27], s[8:9], v[24:25]
	v_fma_f64 v[36:37], v[0:1], s[8:9], v[4:5]
	;; [unrolled: 1-line block ×3, first 2 shown]
	v_add_f64 v[6:7], v[6:7], v[28:29]
	v_add_f64 v[8:9], v[12:13], v[62:63]
	v_fma_f64 v[12:13], v[0:1], s[14:15], v[30:31]
	v_add_f64 v[28:29], v[32:33], v[34:35]
	v_mul_u32_u24_e32 v38, 0xc8, v163
	v_fma_f64 v[0:1], v[0:1], s[16:17], v[24:25]
	v_fma_f64 v[30:31], v[26:27], s[14:15], v[36:37]
	;; [unrolled: 1-line block ×3, first 2 shown]
	v_lshlrev_b32_e32 v26, 3, v162
	v_add3_u32 v129, 0, v38, v26
	v_add_f64 v[26:27], v[108:109], v[110:111]
	v_add_f64 v[8:9], v[8:9], v[120:121]
	v_fma_f64 v[12:13], v[6:7], s[6:7], v[12:13]
	v_add_f64 v[34:35], v[52:53], v[114:115]
	v_fma_f64 v[30:31], v[28:29], s[6:7], v[30:31]
	v_fma_f64 v[4:5], v[28:29], s[6:7], v[4:5]
	v_add_f64 v[28:29], v[40:41], v[52:53]
	v_add_f64 v[24:25], v[52:53], -v[108:109]
	v_add_f64 v[32:33], v[114:115], -v[110:111]
	v_fma_f64 v[26:27], v[26:27], -0.5, v[40:41]
	v_add_f64 v[36:37], v[50:51], -v[112:113]
	ds_write2_b64 v129, v[8:9], v[12:13] offset1:5
	ds_write2_b64 v129, v[30:31], v[4:5] offset0:10 offset1:15
	v_fma_f64 v[0:1], v[6:7], s[6:7], v[0:1]
	v_add_f64 v[4:5], v[28:29], v[108:109]
	v_add_f64 v[6:7], v[98:99], -v[106:107]
	v_fma_f64 v[8:9], v[34:35], -0.5, v[40:41]
	v_add_f64 v[12:13], v[24:25], v[32:33]
	v_fma_f64 v[24:25], v[36:37], s[4:5], v[26:27]
	v_add_f64 v[104:105], v[104:105], -v[2:3]
	v_add_f64 v[2:3], v[10:11], v[20:21]
	v_add_f64 v[28:29], v[108:109], -v[52:53]
	v_add_f64 v[30:31], v[110:111], -v[114:115]
	ds_write_b64 v129, v[0:1] offset:160
	v_add_f64 v[0:1], v[4:5], v[110:111]
	v_add_f64 v[4:5], v[18:19], v[16:17]
	v_fma_f64 v[32:33], v[6:7], s[8:9], v[8:9]
	v_fma_f64 v[8:9], v[6:7], s[4:5], v[8:9]
	;; [unrolled: 1-line block ×4, first 2 shown]
	v_add_f64 v[2:3], v[2:3], v[18:19]
	v_add_f64 v[28:29], v[28:29], v[30:31]
	v_add_f64 v[167:168], v[14:15], -v[22:23]
	v_fma_f64 v[162:163], v[4:5], -0.5, v[10:11]
	v_fma_f64 v[4:5], v[36:37], s[14:15], v[32:33]
	v_fma_f64 v[8:9], v[36:37], s[16:17], v[8:9]
	;; [unrolled: 1-line block ×3, first 2 shown]
	v_add_f64 v[14:15], v[20:21], -v[18:19]
	v_add_f64 v[22:23], v[165:166], -v[16:17]
	v_add_f64 v[0:1], v[0:1], v[114:115]
	v_fma_f64 v[24:25], v[12:13], s[6:7], v[24:25]
	v_add_f64 v[2:3], v[2:3], v[16:17]
	v_fma_f64 v[4:5], v[28:29], s[6:7], v[4:5]
	v_fma_f64 v[8:9], v[28:29], s[6:7], v[8:9]
	;; [unrolled: 1-line block ×3, first 2 shown]
	v_add_f64 v[177:178], v[18:19], -v[20:21]
	v_add_f64 v[171:172], v[14:15], v[22:23]
	v_mul_u32_u24_e32 v14, 0xc8, v132
	v_lshlrev_b32_e32 v15, 3, v133
	v_add3_u32 v133, 0, v14, v15
	ds_write2_b64 v133, v[0:1], v[24:25] offset1:5
	ds_write2_b64 v133, v[4:5], v[8:9] offset0:10 offset1:15
	ds_write_b64 v133, v[6:7] offset:160
	v_add_f64 v[131:132], v[2:3], v[165:166]
	v_add_f64 v[0:1], v[20:21], v[165:166]
	v_add_f64 v[165:166], v[16:17], -v[165:166]
	v_add_f64 v[181:182], v[82:83], v[88:89]
	v_add_f64 v[86:87], v[86:87], -v[96:97]
	v_add_f64 v[96:97], v[169:170], v[82:83]
	v_fma_f64 v[26:27], v[104:105], s[8:9], v[162:163]
	v_add_f64 v[92:93], v[94:95], -v[92:93]
	s_waitcnt lgkmcnt(0)
	v_fma_f64 v[175:176], v[0:1], -0.5, v[10:11]
	v_add_f64 v[165:166], v[177:178], v[165:166]
	v_add_f64 v[177:178], v[90:91], v[84:85]
	v_fma_f64 v[94:95], v[181:182], -0.5, v[169:170]
	v_add_f64 v[96:97], v[96:97], v[90:91]
	v_fma_f64 v[12:13], v[167:168], s[16:17], v[26:27]
	s_barrier
	v_fma_f64 v[179:180], v[167:168], s[4:5], v[175:176]
	v_fma_f64 v[175:176], v[167:168], s[8:9], v[175:176]
	v_fma_f64 v[177:178], v[177:178], -0.5, v[169:170]
	v_add_f64 v[169:170], v[88:89], -v[84:85]
	v_fma_f64 v[183:184], v[92:93], s[4:5], v[94:95]
	v_fma_f64 v[94:95], v[92:93], s[8:9], v[94:95]
	;; [unrolled: 1-line block ×3, first 2 shown]
	ds_read_b64 v[48:49], v140
	ds_read_b64 v[46:47], v158
	;; [unrolled: 1-line block ×5, first 2 shown]
	ds_read2_b64 v[36:39], v142 offset0:113 offset1:238
	ds_read2_b64 v[12:15], v150 offset0:101 offset1:226
	v_fma_f64 v[179:180], v[104:105], s[16:17], v[179:180]
	v_fma_f64 v[175:176], v[104:105], s[14:15], v[175:176]
	;; [unrolled: 1-line block ×3, first 2 shown]
	v_add_f64 v[162:163], v[82:83], -v[90:91]
	v_fma_f64 v[181:182], v[86:87], s[8:9], v[177:178]
	v_add_f64 v[82:83], v[90:91], -v[82:83]
	v_add_f64 v[90:91], v[84:85], -v[88:89]
	v_add_f64 v[84:85], v[96:97], v[84:85]
	v_fma_f64 v[179:180], v[165:166], s[6:7], v[179:180]
	v_fma_f64 v[165:166], v[165:166], s[6:7], v[175:176]
	;; [unrolled: 1-line block ×3, first 2 shown]
	v_add_f64 v[162:163], v[162:163], v[169:170]
	v_fma_f64 v[96:97], v[92:93], s[16:17], v[181:182]
	v_fma_f64 v[94:95], v[86:87], s[14:15], v[94:95]
	v_add_f64 v[82:83], v[82:83], v[90:91]
	v_fma_f64 v[90:91], v[86:87], s[16:17], v[183:184]
	v_add_f64 v[84:85], v[84:85], v[88:89]
	ds_read2_b64 v[32:35], v143 offset0:83 offset1:208
	ds_read2_b64 v[4:7], v151 offset0:71 offset1:196
	;; [unrolled: 1-line block ×4, first 2 shown]
	v_fma_f64 v[104:105], v[171:172], s[6:7], v[104:105]
	ds_read2_b64 v[20:23], v149 offset0:107 offset1:232
	v_fma_f64 v[88:89], v[162:163], s[6:7], v[96:97]
	v_add_f64 v[96:97], v[68:69], v[74:75]
	ds_read2_b64 v[16:19], v148 offset0:77 offset1:202
	ds_read2_b64 v[8:11], v155 offset0:89 offset1:214
	;; [unrolled: 1-line block ×3, first 2 shown]
	s_waitcnt lgkmcnt(0)
	s_barrier
	ds_write2_b64 v164, v[131:132], v[173:174] offset1:5
	ds_write2_b64 v164, v[179:180], v[165:166] offset0:10 offset1:15
	v_fma_f64 v[90:91], v[82:83], s[6:7], v[90:91]
	v_fma_f64 v[82:83], v[82:83], s[6:7], v[94:95]
	;; [unrolled: 1-line block ×3, first 2 shown]
	ds_write_b64 v164, v[104:105] offset:160
	v_add_f64 v[94:95], v[72:73], v[58:59]
	ds_write2_b64 v127, v[84:85], v[88:89] offset1:5
	v_add_f64 v[76:77], v[78:79], -v[76:77]
	v_fma_f64 v[78:79], v[96:97], -0.5, v[124:125]
	v_add_f64 v[84:85], v[124:125], v[72:73]
	ds_write2_b64 v127, v[90:91], v[82:83] offset0:10 offset1:15
	v_fma_f64 v[82:83], v[92:93], s[14:15], v[86:87]
	v_add_f64 v[70:71], v[70:71], -v[80:81]
	v_fma_f64 v[80:81], v[94:95], -0.5, v[124:125]
	v_add_f64 v[86:87], v[72:73], -v[68:69]
	v_add_f64 v[88:89], v[58:59], -v[74:75]
	v_fma_f64 v[90:91], v[76:77], s[8:9], v[78:79]
	v_add_f64 v[84:85], v[84:85], v[68:69]
	v_fma_f64 v[78:79], v[76:77], s[4:5], v[78:79]
	v_add_f64 v[68:69], v[68:69], -v[72:73]
	v_add_f64 v[72:73], v[74:75], -v[58:59]
	v_fma_f64 v[92:93], v[70:71], s[4:5], v[80:81]
	v_fma_f64 v[80:81], v[70:71], s[8:9], v[80:81]
	v_add_f64 v[86:87], v[86:87], v[88:89]
	v_fma_f64 v[88:89], v[70:71], s[16:17], v[90:91]
	v_add_f64 v[74:75], v[84:85], v[74:75]
	;; [unrolled: 2-line block ×3, first 2 shown]
	v_add_f64 v[68:69], v[68:69], v[72:73]
	v_fma_f64 v[72:73], v[76:77], s[16:17], v[92:93]
	v_fma_f64 v[76:77], v[76:77], s[14:15], v[80:81]
	;; [unrolled: 1-line block ×3, first 2 shown]
	v_add_f64 v[82:83], v[64:65], v[56:57]
	v_add_f64 v[58:59], v[74:75], v[58:59]
	v_fma_f64 v[74:75], v[86:87], s[6:7], v[88:89]
	v_add_f64 v[88:89], v[54:55], v[116:117]
	v_add_f64 v[78:79], v[78:79], v[64:65]
	v_add_f64 v[60:61], v[60:61], -v[120:121]
	v_add_f64 v[84:85], v[54:55], -v[64:65]
	;; [unrolled: 1-line block ×3, first 2 shown]
	v_fma_f64 v[82:83], v[82:83], -0.5, v[122:123]
	v_add_f64 v[62:63], v[66:67], -v[62:63]
	v_fma_f64 v[70:71], v[86:87], s[6:7], v[70:71]
	v_fma_f64 v[66:67], v[88:89], -0.5, v[122:123]
	v_fma_f64 v[72:73], v[68:69], s[6:7], v[72:73]
	v_add_f64 v[78:79], v[78:79], v[56:57]
	v_fma_f64 v[68:69], v[68:69], s[6:7], v[76:77]
	v_add_f64 v[76:77], v[84:85], v[90:91]
	v_fma_f64 v[84:85], v[60:61], s[8:9], v[82:83]
	v_add_f64 v[54:55], v[64:65], -v[54:55]
	v_fma_f64 v[64:65], v[60:61], s[4:5], v[82:83]
	v_add_f64 v[56:57], v[56:57], -v[116:117]
	v_add_f64 v[82:83], v[98:99], v[106:107]
	v_fma_f64 v[86:87], v[62:63], s[4:5], v[66:67]
	v_add_f64 v[88:89], v[50:51], v[112:113]
	v_fma_f64 v[66:67], v[62:63], s[8:9], v[66:67]
	v_fma_f64 v[84:85], v[62:63], s[16:17], v[84:85]
	v_add_f64 v[52:53], v[52:53], -v[114:115]
	v_fma_f64 v[62:63], v[62:63], s[14:15], v[64:65]
	v_add_f64 v[64:65], v[118:119], v[50:51]
	v_fma_f64 v[82:83], v[82:83], -0.5, v[118:119]
	v_add_f64 v[54:55], v[54:55], v[56:57]
	v_fma_f64 v[56:57], v[60:61], s[16:17], v[86:87]
	v_add_f64 v[86:87], v[108:109], -v[110:111]
	v_fma_f64 v[88:89], v[88:89], -0.5, v[118:119]
	v_add_f64 v[90:91], v[50:51], -v[98:99]
	v_add_f64 v[92:93], v[112:113], -v[106:107]
	v_add_f64 v[64:65], v[64:65], v[98:99]
	v_fma_f64 v[94:95], v[52:53], s[8:9], v[82:83]
	v_fma_f64 v[82:83], v[52:53], s[4:5], v[82:83]
	v_add_f64 v[50:51], v[98:99], -v[50:51]
	v_add_f64 v[96:97], v[106:107], -v[112:113]
	v_fma_f64 v[98:99], v[86:87], s[4:5], v[88:89]
	v_fma_f64 v[88:89], v[86:87], s[8:9], v[88:89]
	;; [unrolled: 1-line block ×3, first 2 shown]
	v_add_f64 v[66:67], v[90:91], v[92:93]
	v_fma_f64 v[90:91], v[86:87], s[16:17], v[94:95]
	v_fma_f64 v[82:83], v[86:87], s[14:15], v[82:83]
	v_add_f64 v[64:65], v[64:65], v[106:107]
	v_add_f64 v[50:51], v[50:51], v[96:97]
	v_fma_f64 v[86:87], v[52:53], s[16:17], v[98:99]
	v_fma_f64 v[52:53], v[52:53], s[14:15], v[88:89]
	v_add_f64 v[78:79], v[78:79], v[116:117]
	v_fma_f64 v[84:85], v[76:77], s[6:7], v[84:85]
	v_fma_f64 v[56:57], v[54:55], s[6:7], v[56:57]
	;; [unrolled: 1-line block ×4, first 2 shown]
	v_add_f64 v[60:61], v[64:65], v[112:113]
	v_fma_f64 v[64:65], v[66:67], s[6:7], v[90:91]
	v_fma_f64 v[76:77], v[50:51], s[6:7], v[86:87]
	;; [unrolled: 1-line block ×4, first 2 shown]
	ds_write_b64 v127, v[80:81] offset:160
	ds_write2_b64 v128, v[58:59], v[74:75] offset1:5
	ds_write2_b64 v128, v[72:73], v[68:69] offset0:10 offset1:15
	ds_write_b64 v128, v[70:71] offset:160
	ds_write2_b64 v129, v[78:79], v[84:85] offset1:5
	ds_write2_b64 v129, v[56:57], v[54:55] offset0:10 offset1:15
	;; [unrolled: 3-line block ×3, first 2 shown]
	ds_write_b64 v133, v[66:67] offset:160
	v_mov_b32_e32 v50, 41
	v_mul_lo_u16_sdwa v51, v134, v50 dst_sel:DWORD dst_unused:UNUSED_PAD src0_sel:BYTE_0 src1_sel:DWORD
	v_lshrrev_b16_e32 v122, 10, v51
	v_mul_lo_u16_e32 v51, 25, v122
	v_sub_u16_e32 v123, v134, v51
	v_lshlrev_b32_sdwa v72, v126, v123 dst_sel:DWORD dst_unused:UNUSED_PAD src0_sel:DWORD src1_sel:BYTE_0
	s_waitcnt lgkmcnt(0)
	s_barrier
	global_load_dwordx4 v[52:55], v72, s[12:13] offset:320
	v_mul_lo_u16_sdwa v50, v135, v50 dst_sel:DWORD dst_unused:UNUSED_PAD src0_sel:BYTE_0 src1_sel:DWORD
	v_lshrrev_b16_e32 v50, 10, v50
	v_mul_lo_u16_e32 v51, 25, v50
	v_sub_u16_e32 v51, v135, v51
	v_lshlrev_b32_sdwa v73, v126, v51 dst_sel:DWORD dst_unused:UNUSED_PAD src0_sel:DWORD src1_sel:BYTE_0
	global_load_dwordx4 v[56:59], v73, s[12:13] offset:320
	global_load_dwordx4 v[60:63], v72, s[12:13] offset:352
	;; [unrolled: 1-line block ×4, first 2 shown]
	v_mul_u32_u24_sdwa v74, v136, s0 dst_sel:DWORD dst_unused:UNUSED_PAD src0_sel:WORD_0 src1_sel:DWORD
	v_sub_u16_sdwa v75, v136, v74 dst_sel:DWORD dst_unused:UNUSED_PAD src0_sel:DWORD src1_sel:WORD_1
	v_lshrrev_b16_e32 v75, 1, v75
	v_add_u16_sdwa v74, v75, v74 dst_sel:DWORD dst_unused:UNUSED_PAD src0_sel:DWORD src1_sel:WORD_1
	v_lshrrev_b16_e32 v132, 4, v74
	v_mul_lo_u16_e32 v74, 25, v132
	v_sub_u16_e32 v131, v136, v74
	v_lshlrev_b32_e32 v82, 6, v131
	global_load_dwordx4 v[74:77], v82, s[12:13] offset:336
	global_load_dwordx4 v[78:81], v73, s[12:13] offset:368
	global_load_dwordx4 v[108:111], v82, s[12:13] offset:320
	v_mul_u32_u24_sdwa v73, v137, s0 dst_sel:DWORD dst_unused:UNUSED_PAD src0_sel:WORD_0 src1_sel:DWORD
	v_sub_u16_sdwa v83, v137, v73 dst_sel:DWORD dst_unused:UNUSED_PAD src0_sel:DWORD src1_sel:WORD_1
	v_lshrrev_b16_e32 v83, 1, v83
	global_load_dwordx4 v[112:115], v82, s[12:13] offset:368
	v_add_u16_sdwa v73, v83, v73 dst_sel:DWORD dst_unused:UNUSED_PAD src0_sel:DWORD src1_sel:WORD_1
	v_lshrrev_b16_e32 v164, 4, v73
	v_mul_lo_u16_e32 v73, 25, v164
	v_sub_u16_e32 v163, v137, v73
	v_lshlrev_b32_e32 v92, 6, v163
	global_load_dwordx4 v[116:119], v92, s[12:13] offset:320
	global_load_dwordx4 v[124:127], v82, s[12:13] offset:352
	;; [unrolled: 1-line block ×4, first 2 shown]
	v_mul_u32_u24_sdwa v73, v138, s0 dst_sel:DWORD dst_unused:UNUSED_PAD src0_sel:WORD_0 src1_sel:DWORD
	v_sub_u16_sdwa v82, v138, v73 dst_sel:DWORD dst_unused:UNUSED_PAD src0_sel:DWORD src1_sel:WORD_1
	v_lshrrev_b16_e32 v82, 1, v82
	v_add_u16_sdwa v73, v82, v73 dst_sel:DWORD dst_unused:UNUSED_PAD src0_sel:DWORD src1_sel:WORD_1
	v_lshrrev_b16_e32 v133, 4, v73
	v_mul_lo_u16_e32 v73, 25, v133
	v_sub_u16_e32 v162, v138, v73
	v_lshlrev_b32_e32 v93, 6, v162
	global_load_dwordx4 v[173:176], v93, s[12:13] offset:320
	global_load_dwordx4 v[177:180], v92, s[12:13] offset:336
	;; [unrolled: 1-line block ×6, first 2 shown]
	ds_read2_b64 v[82:85], v142 offset0:113 offset1:238
	ds_read2_b64 v[88:91], v143 offset0:83 offset1:208
	global_load_dwordx4 v[197:200], v93, s[12:13] offset:368
	s_waitcnt vmcnt(19) lgkmcnt(1)
	v_mul_f64 v[72:73], v[82:83], v[54:55]
	v_mul_f64 v[54:55], v[36:37], v[54:55]
	s_waitcnt vmcnt(18)
	v_mul_f64 v[86:87], v[84:85], v[58:59]
	v_mul_f64 v[58:59], v[38:39], v[58:59]
	v_fma_f64 v[36:37], v[36:37], v[52:53], v[72:73]
	s_waitcnt vmcnt(17) lgkmcnt(0)
	v_mul_f64 v[72:73], v[88:89], v[62:63]
	v_fma_f64 v[104:105], v[82:83], v[52:53], -v[54:55]
	ds_read2_b64 v[52:55], v145 offset0:95 offset1:220
	v_fma_f64 v[86:87], v[38:39], v[56:57], v[86:87]
	v_mul_f64 v[38:39], v[32:33], v[62:63]
	s_waitcnt vmcnt(15)
	v_mul_f64 v[62:63], v[90:91], v[70:71]
	v_fma_f64 v[82:83], v[84:85], v[56:57], -v[58:59]
	ds_read2_b64 v[56:59], v144 offset0:65 offset1:190
	v_fma_f64 v[32:33], v[32:33], v[60:61], v[72:73]
	s_waitcnt lgkmcnt(1)
	v_mul_f64 v[72:73], v[52:53], v[66:67]
	v_mul_f64 v[66:67], v[28:29], v[66:67]
	;; [unrolled: 1-line block ×3, first 2 shown]
	v_fma_f64 v[106:107], v[88:89], v[60:61], -v[38:39]
	v_fma_f64 v[94:95], v[34:35], v[68:69], v[62:63]
	s_waitcnt vmcnt(14)
	v_mul_f64 v[34:35], v[54:55], v[76:77]
	v_mul_f64 v[38:39], v[30:31], v[76:77]
	v_fma_f64 v[96:97], v[28:29], v[64:65], v[72:73]
	v_fma_f64 v[92:93], v[52:53], v[64:65], -v[66:67]
	s_waitcnt vmcnt(13) lgkmcnt(0)
	v_mul_f64 v[28:29], v[56:57], v[80:81]
	v_mul_f64 v[52:53], v[24:25], v[80:81]
	ds_read2_b64 v[62:65], v149 offset0:107 offset1:232
	v_fma_f64 v[72:73], v[30:31], v[74:75], v[34:35]
	s_waitcnt vmcnt(11)
	v_mul_f64 v[34:35], v[58:59], v[114:115]
	v_fma_f64 v[88:89], v[90:91], v[68:69], -v[70:71]
	v_fma_f64 v[70:71], v[54:55], v[74:75], -v[38:39]
	s_waitcnt lgkmcnt(0)
	v_mul_f64 v[54:55], v[62:63], v[110:111]
	v_fma_f64 v[98:99], v[24:25], v[78:79], v[28:29]
	v_fma_f64 v[90:91], v[56:57], v[78:79], -v[52:53]
	v_mul_f64 v[24:25], v[20:21], v[110:111]
	s_waitcnt vmcnt(10)
	v_mul_f64 v[52:53], v[64:65], v[118:119]
	ds_read2_b64 v[28:31], v148 offset0:77 offset1:202
	v_mul_f64 v[38:39], v[26:27], v[114:115]
	v_fma_f64 v[78:79], v[26:27], v[112:113], v[34:35]
	v_fma_f64 v[80:81], v[20:21], v[108:109], v[54:55]
	v_mul_f64 v[26:27], v[22:23], v[118:119]
	s_waitcnt vmcnt(9) lgkmcnt(0)
	v_mul_f64 v[34:35], v[28:29], v[126:127]
	v_fma_f64 v[74:75], v[62:63], v[108:109], -v[24:25]
	v_fma_f64 v[62:63], v[22:23], v[116:117], v[52:53]
	v_mul_f64 v[24:25], v[16:17], v[126:127]
	ds_read2_b64 v[20:23], v150 offset0:101 offset1:226
	v_fma_f64 v[60:61], v[58:59], v[112:113], -v[38:39]
	s_waitcnt vmcnt(8)
	v_mul_f64 v[38:39], v[30:31], v[167:168]
	v_mul_f64 v[52:53], v[18:19], v[167:168]
	v_fma_f64 v[84:85], v[16:17], v[124:125], v[34:35]
	s_waitcnt vmcnt(7) lgkmcnt(0)
	v_mul_f64 v[16:17], v[22:23], v[171:172]
	v_mul_f64 v[34:35], v[14:15], v[171:172]
	s_waitcnt vmcnt(6)
	v_mul_f64 v[54:55], v[20:21], v[175:176]
	v_fma_f64 v[56:57], v[64:65], v[116:117], -v[26:27]
	v_fma_f64 v[76:77], v[28:29], v[124:125], -v[24:25]
	ds_read2_b64 v[24:27], v155 offset0:89 offset1:214
	v_fma_f64 v[64:65], v[18:19], v[165:166], v[38:39]
	v_mul_f64 v[18:19], v[12:13], v[175:176]
	v_fma_f64 v[14:15], v[14:15], v[169:170], v[16:17]
	v_fma_f64 v[16:17], v[22:23], v[169:170], -v[34:35]
	v_fma_f64 v[54:55], v[12:13], v[173:174], v[54:55]
	s_waitcnt vmcnt(5) lgkmcnt(0)
	v_mul_f64 v[12:13], v[24:25], v[179:180]
	v_mul_f64 v[22:23], v[8:9], v[179:180]
	s_waitcnt vmcnt(4)
	v_mul_f64 v[34:35], v[6:7], v[183:184]
	v_fma_f64 v[58:59], v[30:31], v[165:166], -v[52:53]
	ds_read2_b64 v[28:31], v151 offset0:71 offset1:196
	v_fma_f64 v[52:53], v[20:21], v[173:174], -v[18:19]
	s_waitcnt vmcnt(3)
	v_mul_f64 v[18:19], v[26:27], v[187:188]
	v_mul_f64 v[20:21], v[10:11], v[187:188]
	v_fma_f64 v[68:69], v[8:9], v[177:178], v[12:13]
	s_waitcnt lgkmcnt(0)
	v_mul_f64 v[38:39], v[30:31], v[183:184]
	v_fma_f64 v[66:67], v[24:25], v[177:178], -v[22:23]
	v_add_f64 v[12:13], v[14:15], v[32:33]
	v_fma_f64 v[24:25], v[30:31], v[181:182], -v[34:35]
	s_waitcnt vmcnt(2)
	v_mul_f64 v[22:23], v[28:29], v[191:192]
	v_fma_f64 v[112:113], v[10:11], v[185:186], v[18:19]
	v_fma_f64 v[108:109], v[26:27], v[185:186], -v[20:21]
	v_add_f64 v[18:19], v[48:49], v[36:37]
	v_fma_f64 v[10:11], v[6:7], v[181:182], v[38:39]
	ds_read2_b64 v[6:9], v154 offset0:59 offset1:184
	v_fma_f64 v[12:13], v[12:13], -0.5, v[48:49]
	v_add_f64 v[20:21], v[104:105], -v[24:25]
	v_fma_f64 v[114:115], v[4:5], v[189:190], v[22:23]
	v_mul_f64 v[4:5], v[4:5], v[191:192]
	s_waitcnt vmcnt(1) lgkmcnt(0)
	v_mul_f64 v[22:23], v[6:7], v[195:196]
	v_mul_f64 v[26:27], v[0:1], v[195:196]
	v_add_f64 v[30:31], v[36:37], -v[14:15]
	v_add_f64 v[34:35], v[10:11], -v[32:33]
	v_add_f64 v[18:19], v[18:19], v[14:15]
	v_fma_f64 v[38:39], v[20:21], s[4:5], v[12:13]
	v_add_f64 v[166:167], v[16:17], -v[106:107]
	v_fma_f64 v[110:111], v[28:29], v[189:190], -v[4:5]
	s_waitcnt vmcnt(0)
	v_mul_f64 v[4:5], v[8:9], v[199:200]
	v_fma_f64 v[124:125], v[0:1], v[193:194], v[22:23]
	v_fma_f64 v[120:121], v[6:7], v[193:194], -v[26:27]
	v_add_f64 v[0:1], v[30:31], v[34:35]
	v_add_f64 v[6:7], v[18:19], v[32:33]
	;; [unrolled: 1-line block ×3, first 2 shown]
	v_fma_f64 v[18:19], v[166:167], s[14:15], v[38:39]
	v_mul_f64 v[28:29], v[2:3], v[199:200]
	v_fma_f64 v[118:119], v[2:3], v[197:198], v[4:5]
	v_mul_u32_u24_e32 v2, 0x3e8, v122
	v_lshlrev_b32_sdwa v3, v130, v123 dst_sel:DWORD dst_unused:UNUSED_PAD src0_sel:DWORD src1_sel:BYTE_0
	v_add3_u32 v165, 0, v2, v3
	v_add_f64 v[2:3], v[6:7], v[10:11]
	v_fma_f64 v[6:7], v[22:23], -0.5, v[48:49]
	v_fma_f64 v[4:5], v[0:1], s[6:7], v[18:19]
	v_add_f64 v[18:19], v[14:15], -v[36:37]
	v_add_f64 v[22:23], v[32:33], -v[10:11]
	v_add_f64 v[26:27], v[96:97], v[94:95]
	v_fma_f64 v[116:117], v[8:9], v[197:198], -v[28:29]
	v_fma_f64 v[12:13], v[20:21], s[8:9], v[12:13]
	v_add_f64 v[30:31], v[82:83], -v[90:91]
	v_fma_f64 v[28:29], v[166:167], s[8:9], v[6:7]
	v_fma_f64 v[6:7], v[166:167], s[4:5], v[6:7]
	v_add_f64 v[34:35], v[86:87], -v[96:97]
	v_add_f64 v[18:19], v[18:19], v[22:23]
	v_add_f64 v[22:23], v[46:47], v[86:87]
	v_fma_f64 v[26:27], v[26:27], -0.5, v[46:47]
	v_fma_f64 v[12:13], v[166:167], s[16:17], v[12:13]
	v_add_f64 v[38:39], v[98:99], -v[94:95]
	v_fma_f64 v[28:29], v[20:21], s[14:15], v[28:29]
	v_fma_f64 v[6:7], v[20:21], s[16:17], v[6:7]
	v_add_f64 v[20:21], v[86:87], v[98:99]
	v_add_f64 v[166:167], v[92:93], -v[88:89]
	v_add_f64 v[22:23], v[22:23], v[96:97]
	v_fma_f64 v[48:49], v[30:31], s[4:5], v[26:27]
	ds_read_b64 v[8:9], v140
	ds_read_b64 v[168:169], v158
	;; [unrolled: 1-line block ×5, first 2 shown]
	s_waitcnt lgkmcnt(0)
	s_barrier
	ds_write2_b64 v165, v[2:3], v[4:5] offset1:25
	v_fma_f64 v[2:3], v[18:19], s[6:7], v[28:29]
	v_fma_f64 v[4:5], v[20:21], -0.5, v[46:47]
	v_fma_f64 v[6:7], v[18:19], s[6:7], v[6:7]
	v_fma_f64 v[0:1], v[0:1], s[6:7], v[12:13]
	v_add_f64 v[12:13], v[34:35], v[38:39]
	v_add_f64 v[18:19], v[22:23], v[94:95]
	v_fma_f64 v[20:21], v[166:167], s[14:15], v[48:49]
	v_add_f64 v[22:23], v[96:97], -v[86:87]
	v_add_f64 v[28:29], v[94:95], -v[98:99]
	v_fma_f64 v[34:35], v[166:167], s[8:9], v[4:5]
	ds_write2_b64 v165, v[2:3], v[6:7] offset0:50 offset1:75
	ds_write_b64 v165, v[0:1] offset:800
	v_fma_f64 v[2:3], v[166:167], s[4:5], v[4:5]
	v_lshlrev_b32_sdwa v38, v130, v51 dst_sel:DWORD dst_unused:UNUSED_PAD src0_sel:DWORD src1_sel:BYTE_0
	v_add_f64 v[0:1], v[18:19], v[98:99]
	v_fma_f64 v[4:5], v[12:13], s[6:7], v[20:21]
	v_add_f64 v[20:21], v[72:73], v[84:85]
	v_add_f64 v[6:7], v[22:23], v[28:29]
	v_mul_u32_u24_e32 v22, 0x3e8, v50
	v_add3_u32 v130, 0, v22, v38
	v_fma_f64 v[18:19], v[30:31], s[14:15], v[34:35]
	v_fma_f64 v[22:23], v[30:31], s[8:9], v[26:27]
	;; [unrolled: 1-line block ×3, first 2 shown]
	ds_write2_b64 v130, v[0:1], v[4:5] offset1:25
	v_add_f64 v[0:1], v[80:81], v[78:79]
	v_fma_f64 v[20:21], v[20:21], -0.5, v[44:45]
	v_add_f64 v[26:27], v[74:75], -v[60:61]
	v_add_f64 v[28:29], v[80:81], -v[72:73]
	v_fma_f64 v[4:5], v[6:7], s[6:7], v[18:19]
	v_add_f64 v[18:19], v[44:45], v[80:81]
	v_fma_f64 v[22:23], v[166:167], s[16:17], v[22:23]
	v_fma_f64 v[2:3], v[6:7], s[6:7], v[2:3]
	v_add_f64 v[6:7], v[70:71], -v[76:77]
	v_fma_f64 v[0:1], v[0:1], -0.5, v[44:45]
	v_add_f64 v[30:31], v[78:79], -v[84:85]
	v_fma_f64 v[34:35], v[26:27], s[4:5], v[20:21]
	v_add_f64 v[38:39], v[84:85], -v[78:79]
	v_add_f64 v[18:19], v[18:19], v[72:73]
	v_fma_f64 v[12:13], v[12:13], s[6:7], v[22:23]
	v_add_f64 v[22:23], v[72:73], -v[80:81]
	ds_write2_b64 v130, v[4:5], v[2:3] offset0:50 offset1:75
	ds_write_b64 v130, v[12:13] offset:800
	v_fma_f64 v[44:45], v[6:7], s[8:9], v[0:1]
	v_fma_f64 v[0:1], v[6:7], s[4:5], v[0:1]
	v_add_f64 v[28:29], v[28:29], v[30:31]
	v_add_f64 v[18:19], v[18:19], v[84:85]
	v_fma_f64 v[30:31], v[6:7], s[14:15], v[34:35]
	v_add_f64 v[2:3], v[22:23], v[38:39]
	v_fma_f64 v[20:21], v[26:27], s[8:9], v[20:21]
	;; [unrolled: 2-line block ×3, first 2 shown]
	v_fma_f64 v[0:1], v[26:27], s[16:17], v[0:1]
	v_mul_u32_u24_e32 v34, 0x3e8, v132
	v_add_f64 v[12:13], v[18:19], v[78:79]
	v_fma_f64 v[18:19], v[28:29], s[6:7], v[30:31]
	v_lshlrev_b32_e32 v26, 3, v131
	v_add3_u32 v44, 0, v34, v26
	v_fma_f64 v[6:7], v[6:7], s[16:17], v[20:21]
	v_fma_f64 v[4:5], v[2:3], s[6:7], v[4:5]
	;; [unrolled: 1-line block ×3, first 2 shown]
	v_add_f64 v[2:3], v[62:63], v[124:125]
	v_add_f64 v[20:21], v[56:57], -v[120:121]
	ds_write2_b64 v44, v[12:13], v[18:19] offset1:25
	v_add_f64 v[12:13], v[42:43], v[62:63]
	v_fma_f64 v[18:19], v[22:23], -0.5, v[42:43]
	v_add_f64 v[22:23], v[124:125], -v[64:65]
	v_fma_f64 v[6:7], v[28:29], s[6:7], v[6:7]
	ds_write2_b64 v44, v[4:5], v[0:1] offset0:50 offset1:75
	v_add_f64 v[0:1], v[66:67], -v[58:59]
	v_fma_f64 v[2:3], v[2:3], -0.5, v[42:43]
	v_add_f64 v[4:5], v[62:63], -v[68:69]
	v_add_f64 v[12:13], v[12:13], v[68:69]
	v_fma_f64 v[26:27], v[20:21], s[4:5], v[18:19]
	v_add_f64 v[28:29], v[68:69], -v[62:63]
	v_add_f64 v[30:31], v[64:65], -v[124:125]
	ds_write_b64 v44, v[6:7] offset:800
	v_fma_f64 v[18:19], v[20:21], s[8:9], v[18:19]
	v_fma_f64 v[34:35], v[0:1], s[8:9], v[2:3]
	;; [unrolled: 1-line block ×3, first 2 shown]
	v_add_f64 v[4:5], v[4:5], v[22:23]
	v_add_f64 v[6:7], v[12:13], v[64:65]
	v_fma_f64 v[12:13], v[0:1], s[14:15], v[26:27]
	v_add_f64 v[22:23], v[28:29], v[30:31]
	v_mul_u32_u24_e32 v38, 0x3e8, v164
	v_fma_f64 v[0:1], v[0:1], s[16:17], v[18:19]
	v_fma_f64 v[26:27], v[20:21], s[14:15], v[34:35]
	;; [unrolled: 1-line block ×3, first 2 shown]
	v_lshlrev_b32_e32 v20, 3, v163
	v_add3_u32 v45, 0, v38, v20
	v_add_f64 v[20:21], v[112:113], v[114:115]
	v_add_f64 v[6:7], v[6:7], v[124:125]
	v_fma_f64 v[12:13], v[4:5], s[6:7], v[12:13]
	v_add_f64 v[30:31], v[54:55], v[118:119]
	v_fma_f64 v[26:27], v[22:23], s[6:7], v[26:27]
	v_fma_f64 v[2:3], v[22:23], s[6:7], v[2:3]
	v_add_f64 v[22:23], v[40:41], v[54:55]
	v_add_f64 v[18:19], v[54:55], -v[112:113]
	v_add_f64 v[28:29], v[118:119], -v[114:115]
	v_fma_f64 v[20:21], v[20:21], -0.5, v[40:41]
	v_add_f64 v[34:35], v[52:53], -v[116:117]
	ds_write2_b64 v45, v[6:7], v[12:13] offset1:25
	ds_write2_b64 v45, v[26:27], v[2:3] offset0:50 offset1:75
	v_fma_f64 v[0:1], v[4:5], s[6:7], v[0:1]
	v_add_f64 v[2:3], v[22:23], v[112:113]
	v_add_f64 v[4:5], v[108:109], -v[110:111]
	v_fma_f64 v[6:7], v[30:31], -0.5, v[40:41]
	v_add_f64 v[12:13], v[18:19], v[28:29]
	v_fma_f64 v[18:19], v[34:35], s[4:5], v[20:21]
	v_add_f64 v[22:23], v[112:113], -v[54:55]
	v_add_f64 v[26:27], v[114:115], -v[118:119]
	ds_write_b64 v45, v[0:1] offset:800
	v_add_f64 v[0:1], v[2:3], v[114:115]
	v_add_f64 v[2:3], v[16:17], v[106:107]
	v_fma_f64 v[28:29], v[4:5], s[8:9], v[6:7]
	v_fma_f64 v[6:7], v[4:5], s[4:5], v[6:7]
	;; [unrolled: 1-line block ×4, first 2 shown]
	v_add_f64 v[131:132], v[36:37], -v[10:11]
	v_add_f64 v[10:11], v[8:9], v[104:105]
	v_add_f64 v[22:23], v[22:23], v[26:27]
	v_fma_f64 v[163:164], v[2:3], -0.5, v[8:9]
	v_fma_f64 v[2:3], v[34:35], s[14:15], v[28:29]
	v_fma_f64 v[6:7], v[34:35], s[16:17], v[6:7]
	;; [unrolled: 1-line block ×3, first 2 shown]
	v_add_f64 v[166:167], v[14:15], -v[32:33]
	v_add_f64 v[14:15], v[104:105], -v[16:17]
	;; [unrolled: 1-line block ×3, first 2 shown]
	v_add_f64 v[10:11], v[10:11], v[16:17]
	v_add_f64 v[0:1], v[0:1], v[118:119]
	v_fma_f64 v[18:19], v[12:13], s[6:7], v[18:19]
	v_fma_f64 v[2:3], v[22:23], s[6:7], v[2:3]
	;; [unrolled: 1-line block ×4, first 2 shown]
	v_add_f64 v[180:181], v[82:83], v[90:91]
	v_add_f64 v[170:171], v[14:15], v[20:21]
	v_mul_u32_u24_e32 v14, 0x3e8, v133
	v_lshlrev_b32_e32 v15, 3, v162
	v_add3_u32 v133, 0, v14, v15
	v_add_f64 v[10:11], v[10:11], v[106:107]
	ds_write2_b64 v133, v[0:1], v[18:19] offset1:25
	ds_write2_b64 v133, v[2:3], v[6:7] offset0:50 offset1:75
	ds_write_b64 v133, v[4:5] offset:800
	v_add_f64 v[0:1], v[104:105], v[24:25]
	v_add_f64 v[104:105], v[16:17], -v[104:105]
	v_add_f64 v[106:107], v[106:107], -v[24:25]
	;; [unrolled: 1-line block ×3, first 2 shown]
	v_add_f64 v[98:99], v[168:169], v[82:83]
	v_add_f64 v[94:95], v[96:97], -v[94:95]
	v_fma_f64 v[96:97], v[180:181], -0.5, v[168:169]
	v_fma_f64 v[26:27], v[131:132], s[8:9], v[163:164]
	v_fma_f64 v[176:177], v[0:1], -0.5, v[8:9]
	v_add_f64 v[172:173], v[10:11], v[24:25]
	v_add_f64 v[104:105], v[104:105], v[106:107]
	;; [unrolled: 1-line block ×4, first 2 shown]
	s_waitcnt lgkmcnt(0)
	v_fma_f64 v[182:183], v[94:95], s[4:5], v[96:97]
	v_fma_f64 v[96:97], v[94:95], s[8:9], v[96:97]
	;; [unrolled: 1-line block ×5, first 2 shown]
	v_fma_f64 v[106:107], v[106:107], -0.5, v[168:169]
	v_add_f64 v[168:169], v[90:91], -v[88:89]
	s_barrier
	v_fma_f64 v[96:97], v[86:87], s[14:15], v[96:97]
	v_fma_f64 v[178:179], v[131:132], s[16:17], v[178:179]
	;; [unrolled: 1-line block ×4, first 2 shown]
	v_add_f64 v[162:163], v[82:83], -v[92:93]
	v_fma_f64 v[180:181], v[86:87], s[8:9], v[106:107]
	v_add_f64 v[82:83], v[92:93], -v[82:83]
	v_add_f64 v[92:93], v[88:89], -v[90:91]
	v_add_f64 v[88:89], v[98:99], v[88:89]
	v_fma_f64 v[174:175], v[170:171], s[6:7], v[12:13]
	v_fma_f64 v[178:179], v[104:105], s[6:7], v[178:179]
	v_fma_f64 v[131:132], v[166:167], s[14:15], v[131:132]
	v_add_f64 v[162:163], v[162:163], v[168:169]
	v_fma_f64 v[98:99], v[94:95], s[16:17], v[180:181]
	v_fma_f64 v[104:105], v[104:105], s[6:7], v[176:177]
	v_add_f64 v[82:83], v[82:83], v[92:93]
	v_fma_f64 v[92:93], v[86:87], s[16:17], v[182:183]
	v_add_f64 v[88:89], v[88:89], v[90:91]
	ds_read_b64 v[50:51], v140
	ds_read_b64 v[48:49], v158
	;; [unrolled: 1-line block ×5, first 2 shown]
	ds_read2_b64 v[36:39], v142 offset0:113 offset1:238
	ds_read2_b64 v[12:15], v150 offset0:101 offset1:226
	v_fma_f64 v[131:132], v[170:171], s[6:7], v[131:132]
	ds_read2_b64 v[32:35], v143 offset0:83 offset1:208
	ds_read2_b64 v[4:7], v151 offset0:71 offset1:196
	ds_read2_b64 v[20:23], v145 offset0:95 offset1:220
	ds_read2_b64 v[8:11], v144 offset0:65 offset1:190
	v_fma_f64 v[90:91], v[162:163], s[6:7], v[98:99]
	v_add_f64 v[98:99], v[70:71], v[76:77]
	ds_read2_b64 v[28:31], v149 offset0:107 offset1:232
	v_fma_f64 v[92:93], v[82:83], s[6:7], v[92:93]
	v_fma_f64 v[82:83], v[82:83], s[6:7], v[96:97]
	v_add_f64 v[96:97], v[74:75], v[60:61]
	ds_read2_b64 v[24:27], v148 offset0:77 offset1:202
	ds_read2_b64 v[16:19], v155 offset0:89 offset1:214
	ds_read2_b64 v[0:3], v154 offset0:59 offset1:184
	s_waitcnt lgkmcnt(0)
	s_barrier
	ds_write2_b64 v165, v[172:173], v[174:175] offset1:25
	ds_write2_b64 v165, v[178:179], v[104:105] offset0:50 offset1:75
	v_fma_f64 v[86:87], v[86:87], s[4:5], v[106:107]
	ds_write_b64 v165, v[131:132] offset:800
	ds_write2_b64 v130, v[88:89], v[90:91] offset1:25
	v_add_f64 v[78:79], v[80:81], -v[78:79]
	v_fma_f64 v[80:81], v[98:99], -0.5, v[128:129]
	v_add_f64 v[88:89], v[128:129], v[74:75]
	v_add_f64 v[72:73], v[72:73], -v[84:85]
	v_fma_f64 v[84:85], v[96:97], -0.5, v[128:129]
	ds_write2_b64 v130, v[92:93], v[82:83] offset0:50 offset1:75
	v_fma_f64 v[82:83], v[94:95], s[14:15], v[86:87]
	v_add_f64 v[86:87], v[74:75], -v[70:71]
	v_add_f64 v[90:91], v[60:61], -v[76:77]
	v_fma_f64 v[92:93], v[78:79], s[8:9], v[80:81]
	v_add_f64 v[88:89], v[88:89], v[70:71]
	v_add_f64 v[70:71], v[70:71], -v[74:75]
	v_add_f64 v[74:75], v[76:77], -v[60:61]
	v_fma_f64 v[94:95], v[72:73], s[4:5], v[84:85]
	v_fma_f64 v[84:85], v[72:73], s[8:9], v[84:85]
	;; [unrolled: 1-line block ×3, first 2 shown]
	v_add_f64 v[86:87], v[86:87], v[90:91]
	v_fma_f64 v[90:91], v[72:73], s[16:17], v[92:93]
	v_add_f64 v[76:77], v[88:89], v[76:77]
	v_add_f64 v[62:63], v[62:63], -v[124:125]
	v_add_f64 v[70:71], v[70:71], v[74:75]
	v_fma_f64 v[74:75], v[78:79], s[16:17], v[94:95]
	v_fma_f64 v[78:79], v[78:79], s[14:15], v[84:85]
	v_add_f64 v[84:85], v[66:67], v[58:59]
	v_fma_f64 v[72:73], v[72:73], s[14:15], v[80:81]
	v_add_f64 v[80:81], v[126:127], v[56:57]
	v_add_f64 v[60:61], v[76:77], v[60:61]
	v_fma_f64 v[76:77], v[86:87], s[6:7], v[90:91]
	v_add_f64 v[90:91], v[56:57], v[120:121]
	v_add_f64 v[88:89], v[56:57], -v[66:67]
	v_add_f64 v[92:93], v[120:121], -v[58:59]
	v_fma_f64 v[84:85], v[84:85], -0.5, v[126:127]
	v_add_f64 v[64:65], v[68:69], -v[64:65]
	v_add_f64 v[80:81], v[80:81], v[66:67]
	v_fma_f64 v[72:73], v[86:87], s[6:7], v[72:73]
	v_add_f64 v[56:57], v[66:67], -v[56:57]
	v_fma_f64 v[68:69], v[90:91], -0.5, v[126:127]
	v_fma_f64 v[74:75], v[70:71], s[6:7], v[74:75]
	v_fma_f64 v[70:71], v[70:71], s[6:7], v[78:79]
	;; [unrolled: 1-line block ×4, first 2 shown]
	v_add_f64 v[84:85], v[108:109], v[110:111]
	v_add_f64 v[80:81], v[80:81], v[58:59]
	;; [unrolled: 1-line block ×3, first 2 shown]
	v_add_f64 v[58:59], v[58:59], -v[120:121]
	v_fma_f64 v[88:89], v[64:65], s[4:5], v[68:69]
	v_add_f64 v[90:91], v[52:53], v[116:117]
	v_fma_f64 v[68:69], v[64:65], s[8:9], v[68:69]
	v_fma_f64 v[86:87], v[64:65], s[16:17], v[86:87]
	;; [unrolled: 1-line block ×3, first 2 shown]
	v_add_f64 v[54:55], v[54:55], -v[118:119]
	v_add_f64 v[66:67], v[122:123], v[52:53]
	v_fma_f64 v[84:85], v[84:85], -0.5, v[122:123]
	v_add_f64 v[56:57], v[56:57], v[58:59]
	v_fma_f64 v[58:59], v[62:63], s[16:17], v[88:89]
	v_add_f64 v[88:89], v[112:113], -v[114:115]
	v_fma_f64 v[90:91], v[90:91], -0.5, v[122:123]
	v_add_f64 v[92:93], v[52:53], -v[108:109]
	v_add_f64 v[94:95], v[116:117], -v[110:111]
	v_add_f64 v[66:67], v[66:67], v[108:109]
	v_fma_f64 v[96:97], v[54:55], s[8:9], v[84:85]
	v_fma_f64 v[84:85], v[54:55], s[4:5], v[84:85]
	v_add_f64 v[52:53], v[108:109], -v[52:53]
	v_add_f64 v[98:99], v[110:111], -v[116:117]
	v_fma_f64 v[104:105], v[88:89], s[4:5], v[90:91]
	v_fma_f64 v[90:91], v[88:89], s[8:9], v[90:91]
	;; [unrolled: 1-line block ×3, first 2 shown]
	v_add_f64 v[68:69], v[92:93], v[94:95]
	v_fma_f64 v[92:93], v[88:89], s[16:17], v[96:97]
	v_add_f64 v[66:67], v[66:67], v[110:111]
	v_fma_f64 v[82:83], v[162:163], s[6:7], v[82:83]
	v_fma_f64 v[84:85], v[88:89], s[14:15], v[84:85]
	v_add_f64 v[52:53], v[52:53], v[98:99]
	v_fma_f64 v[88:89], v[54:55], s[16:17], v[104:105]
	;; [unrolled: 3-line block ×3, first 2 shown]
	v_fma_f64 v[58:59], v[56:57], s[6:7], v[58:59]
	v_fma_f64 v[56:57], v[56:57], s[6:7], v[62:63]
	;; [unrolled: 1-line block ×3, first 2 shown]
	v_add_f64 v[62:63], v[66:67], v[116:117]
	v_fma_f64 v[66:67], v[68:69], s[6:7], v[92:93]
	v_fma_f64 v[68:69], v[68:69], s[6:7], v[84:85]
	;; [unrolled: 1-line block ×4, first 2 shown]
	ds_write_b64 v130, v[82:83] offset:800
	ds_write2_b64 v44, v[60:61], v[76:77] offset1:25
	ds_write2_b64 v44, v[74:75], v[70:71] offset0:50 offset1:75
	ds_write_b64 v44, v[72:73] offset:800
	ds_write2_b64 v45, v[80:81], v[86:87] offset1:25
	ds_write2_b64 v45, v[58:59], v[56:57] offset0:50 offset1:75
	;; [unrolled: 3-line block ×3, first 2 shown]
	ds_write_b64 v133, v[68:69] offset:800
	v_lshlrev_b32_e32 v44, 2, v134
	v_mov_b32_e32 v45, 0
	v_lshlrev_b64 v[52:53], 4, v[44:45]
	v_mov_b32_e32 v44, s13
	v_add_co_u32_e64 v74, s[0:1], s12, v52
	v_addc_co_u32_e64 v75, s[0:1], v44, v53, s[0:1]
	s_waitcnt lgkmcnt(0)
	s_barrier
	global_load_dwordx4 v[52:55], v[74:75], off offset:1920
	global_load_dwordx4 v[58:61], v[74:75], off offset:1952
	s_movk_i32 s0, 0x625
	v_mul_u32_u24_sdwa v44, v136, s0 dst_sel:DWORD dst_unused:UNUSED_PAD src0_sel:WORD_0 src1_sel:DWORD
	v_sub_u16_sdwa v56, v136, v44 dst_sel:DWORD dst_unused:UNUSED_PAD src0_sel:DWORD src1_sel:WORD_1
	v_lshrrev_b16_e32 v56, 1, v56
	v_add_u16_sdwa v44, v56, v44 dst_sel:DWORD dst_unused:UNUSED_PAD src0_sel:DWORD src1_sel:WORD_1
	v_lshrrev_b16_e32 v44, 6, v44
	v_mul_lo_u16_e32 v44, 0x7d, v44
	v_sub_u16_e32 v56, v136, v44
	v_mul_u32_u24_sdwa v44, v137, s0 dst_sel:DWORD dst_unused:UNUSED_PAD src0_sel:WORD_0 src1_sel:DWORD
	v_sub_u16_sdwa v57, v137, v44 dst_sel:DWORD dst_unused:UNUSED_PAD src0_sel:DWORD src1_sel:WORD_1
	v_lshrrev_b16_e32 v57, 1, v57
	v_lshlrev_b32_e32 v70, 6, v56
	v_add_u16_sdwa v44, v57, v44 dst_sel:DWORD dst_unused:UNUSED_PAD src0_sel:DWORD src1_sel:WORD_1
	v_lshrrev_b16_e32 v44, 6, v44
	global_load_dwordx4 v[62:65], v70, s[12:13] offset:1920
	v_mul_lo_u16_e32 v44, 0x7d, v44
	v_sub_u16_e32 v44, v137, v44
	v_lshlrev_b32_e32 v90, 6, v44
	global_load_dwordx4 v[66:69], v90, s[12:13] offset:1920
	global_load_dwordx4 v[78:81], v70, s[12:13] offset:1952
	;; [unrolled: 1-line block ×4, first 2 shown]
	global_load_dwordx4 v[108:111], v[74:75], off offset:1936
	v_mul_u32_u24_sdwa v57, v138, s0 dst_sel:DWORD dst_unused:UNUSED_PAD src0_sel:WORD_0 src1_sel:DWORD
	v_sub_u16_sdwa v71, v138, v57 dst_sel:DWORD dst_unused:UNUSED_PAD src0_sel:DWORD src1_sel:WORD_1
	v_lshrrev_b16_e32 v71, 1, v71
	v_add_u16_sdwa v57, v71, v57 dst_sel:DWORD dst_unused:UNUSED_PAD src0_sel:DWORD src1_sel:WORD_1
	v_lshrrev_b16_e32 v57, 6, v57
	v_mul_lo_u16_e32 v57, 0x7d, v57
	v_sub_u16_e32 v57, v138, v57
	v_lshlrev_b32_e32 v91, 6, v57
	global_load_dwordx4 v[118:121], v91, s[12:13] offset:1920
	global_load_dwordx4 v[122:125], v90, s[12:13] offset:1936
	;; [unrolled: 1-line block ×4, first 2 shown]
	global_load_dwordx4 v[162:165], v[74:75], off offset:1968
	global_load_dwordx4 v[166:169], v91, s[12:13] offset:1952
	global_load_dwordx4 v[174:177], v90, s[12:13] offset:1968
	ds_read2_b64 v[70:73], v142 offset0:113 offset1:238
	global_load_dwordx4 v[178:181], v91, s[12:13] offset:1968
	ds_read2_b64 v[94:97], v143 offset0:83 offset1:208
	ds_read2_b64 v[170:173], v149 offset0:107 offset1:232
	;; [unrolled: 1-line block ×3, first 2 shown]
	v_add_u32_e32 v187, 0x400, v140
	v_add_u32_e32 v188, 0xc00, v140
	;; [unrolled: 1-line block ×4, first 2 shown]
	v_lshl_add_u32 v44, v44, 3, 0
	v_add_u32_e32 v193, 0x3800, v44
	v_add_u32_e32 v194, 0x4000, v44
	v_lshl_add_u32 v195, v57, 3, 0
	v_add_u32_e32 v196, 0x4c00, v195
	v_add_u32_e32 v197, 0x5400, v195
	s_movk_i32 s0, 0x2000
	s_waitcnt vmcnt(15) lgkmcnt(3)
	v_mul_f64 v[86:87], v[72:73], v[54:55]
	v_mul_f64 v[88:89], v[36:37], v[54:55]
	;; [unrolled: 1-line block ×4, first 2 shown]
	v_fma_f64 v[112:113], v[38:39], v[52:53], v[86:87]
	v_fma_f64 v[86:87], v[70:71], v[52:53], -v[88:89]
	s_waitcnt vmcnt(14) lgkmcnt(2)
	v_mul_f64 v[70:71], v[96:97], v[60:61]
	v_fma_f64 v[36:37], v[36:37], v[52:53], v[76:77]
	v_mul_f64 v[38:39], v[94:95], v[60:61]
	v_fma_f64 v[92:93], v[72:73], v[52:53], -v[54:55]
	v_mul_f64 v[52:53], v[32:33], v[60:61]
	v_mul_f64 v[54:55], v[34:35], v[60:61]
	s_waitcnt vmcnt(13) lgkmcnt(1)
	v_mul_f64 v[60:61], v[170:171], v[64:65]
	v_fma_f64 v[114:115], v[34:35], v[58:59], v[70:71]
	s_waitcnt vmcnt(12)
	v_mul_f64 v[34:35], v[172:173], v[68:69]
	v_fma_f64 v[38:39], v[32:33], v[58:59], v[38:39]
	v_mul_f64 v[32:33], v[28:29], v[64:65]
	v_fma_f64 v[90:91], v[94:95], v[58:59], -v[52:53]
	v_fma_f64 v[96:97], v[96:97], v[58:59], -v[54:55]
	v_fma_f64 v[72:73], v[28:29], v[62:63], v[60:61]
	v_mul_f64 v[52:53], v[30:31], v[68:69]
	s_waitcnt vmcnt(11) lgkmcnt(0)
	v_mul_f64 v[58:59], v[182:183], v[80:81]
	v_fma_f64 v[54:55], v[30:31], v[66:67], v[34:35]
	ds_read2_b64 v[28:31], v145 offset0:95 offset1:220
	s_waitcnt vmcnt(10)
	v_mul_f64 v[34:35], v[184:185], v[84:85]
	v_mul_f64 v[60:61], v[24:25], v[80:81]
	v_fma_f64 v[70:71], v[170:171], v[62:63], -v[32:33]
	v_mul_f64 v[62:63], v[26:27], v[84:85]
	s_waitcnt vmcnt(9) lgkmcnt(0)
	v_mul_f64 v[64:65], v[30:31], v[106:107]
	v_fma_f64 v[32:33], v[172:173], v[66:67], -v[52:53]
	v_mul_f64 v[66:67], v[22:23], v[106:107]
	v_fma_f64 v[76:77], v[24:25], v[78:79], v[58:59]
	v_fma_f64 v[52:53], v[26:27], v[82:83], v[34:35]
	s_waitcnt vmcnt(8)
	v_mul_f64 v[34:35], v[20:21], v[110:111]
	v_fma_f64 v[68:69], v[182:183], v[78:79], -v[60:61]
	ds_read2_b64 v[58:61], v150 offset0:101 offset1:226
	v_mul_f64 v[26:27], v[28:29], v[110:111]
	v_fma_f64 v[88:89], v[22:23], v[104:105], v[64:65]
	v_mul_f64 v[22:23], v[14:15], v[110:111]
	ds_read2_b64 v[78:81], v155 offset0:89 offset1:214
	v_fma_f64 v[24:25], v[184:185], v[82:83], -v[62:63]
	s_waitcnt lgkmcnt(1)
	v_mul_f64 v[62:63], v[60:61], v[110:111]
	v_fma_f64 v[84:85], v[30:31], v[104:105], -v[66:67]
	s_waitcnt vmcnt(7)
	v_mul_f64 v[30:31], v[58:59], v[120:121]
	v_fma_f64 v[106:107], v[28:29], v[108:109], -v[34:35]
	s_waitcnt vmcnt(6) lgkmcnt(0)
	v_mul_f64 v[28:29], v[78:79], v[124:125]
	v_mul_f64 v[34:35], v[16:17], v[124:125]
	v_fma_f64 v[116:117], v[20:21], v[108:109], v[26:27]
	v_mul_f64 v[26:27], v[12:13], v[120:121]
	v_fma_f64 v[104:105], v[60:61], v[108:109], -v[22:23]
	ds_read2_b64 v[20:23], v144 offset0:65 offset1:190
	v_fma_f64 v[14:15], v[14:15], v[108:109], v[62:63]
	v_fma_f64 v[30:31], v[12:13], v[118:119], v[30:31]
	s_waitcnt vmcnt(5)
	v_mul_f64 v[12:13], v[80:81], v[128:129]
	v_mul_f64 v[66:67], v[18:19], v[128:129]
	v_fma_f64 v[64:65], v[16:17], v[122:123], v[28:29]
	v_fma_f64 v[62:63], v[78:79], v[122:123], -v[34:35]
	s_waitcnt vmcnt(4) lgkmcnt(0)
	v_mul_f64 v[16:17], v[22:23], v[132:133]
	s_waitcnt vmcnt(3)
	v_mul_f64 v[78:79], v[6:7], v[164:165]
	v_fma_f64 v[26:27], v[58:59], v[118:119], -v[26:27]
	ds_read2_b64 v[58:61], v151 offset0:71 offset1:196
	v_fma_f64 v[34:35], v[18:19], v[126:127], v[12:13]
	v_fma_f64 v[28:29], v[80:81], v[126:127], -v[66:67]
	v_mul_f64 v[12:13], v[10:11], v[132:133]
	v_mul_f64 v[18:19], v[20:21], v[164:165]
	s_waitcnt lgkmcnt(0)
	v_mul_f64 v[66:67], v[60:61], v[164:165]
	v_fma_f64 v[98:99], v[10:11], v[130:131], v[16:17]
	v_add_f64 v[10:11], v[14:15], v[38:39]
	v_fma_f64 v[108:109], v[60:61], v[162:163], -v[78:79]
	v_mul_f64 v[16:17], v[8:9], v[164:165]
	s_waitcnt vmcnt(2)
	v_mul_f64 v[60:61], v[58:59], v[168:169]
	v_fma_f64 v[94:95], v[22:23], v[130:131], -v[12:13]
	v_fma_f64 v[118:119], v[8:9], v[162:163], v[18:19]
	v_fma_f64 v[6:7], v[6:7], v[162:163], v[66:67]
	v_add_f64 v[12:13], v[50:51], v[36:37]
	v_fma_f64 v[18:19], v[10:11], -0.5, v[50:51]
	v_add_f64 v[22:23], v[86:87], -v[108:109]
	ds_read2_b64 v[8:11], v154 offset0:59 offset1:184
	v_fma_f64 v[110:111], v[20:21], v[162:163], -v[16:17]
	v_fma_f64 v[66:67], v[4:5], v[166:167], v[60:61]
	v_add_f64 v[16:17], v[36:37], -v[14:15]
	v_add_f64 v[20:21], v[6:7], -v[38:39]
	v_add_f64 v[12:13], v[12:13], v[14:15]
	v_add_f64 v[78:79], v[104:105], -v[90:91]
	v_fma_f64 v[60:61], v[22:23], s[4:5], v[18:19]
	s_waitcnt vmcnt(1) lgkmcnt(0)
	v_mul_f64 v[80:81], v[8:9], v[176:177]
	v_add_f64 v[132:133], v[36:37], v[6:7]
	v_mul_f64 v[4:5], v[4:5], v[168:169]
	v_mul_f64 v[82:83], v[0:1], v[176:177]
	s_waitcnt vmcnt(0)
	v_mul_f64 v[120:121], v[10:11], v[180:181]
	v_mul_f64 v[128:129], v[2:3], v[180:181]
	v_add_f64 v[16:17], v[16:17], v[20:21]
	v_add_f64 v[12:13], v[12:13], v[38:39]
	v_fma_f64 v[20:21], v[78:79], s[14:15], v[60:61]
	v_fma_f64 v[130:131], v[0:1], v[174:175], v[80:81]
	v_fma_f64 v[0:1], v[132:133], -0.5, v[50:51]
	v_fma_f64 v[122:123], v[58:59], v[166:167], -v[4:5]
	v_fma_f64 v[124:125], v[8:9], v[174:175], -v[82:83]
	v_fma_f64 v[126:127], v[2:3], v[178:179], v[120:121]
	v_fma_f64 v[120:121], v[10:11], v[178:179], -v[128:129]
	v_add_f64 v[2:3], v[12:13], v[6:7]
	v_fma_f64 v[4:5], v[16:17], s[6:7], v[20:21]
	v_add_f64 v[8:9], v[14:15], -v[36:37]
	v_add_f64 v[10:11], v[38:39], -v[6:7]
	v_add_f64 v[12:13], v[48:49], v[112:113]
	v_fma_f64 v[20:21], v[78:79], s[8:9], v[0:1]
	v_fma_f64 v[0:1], v[78:79], s[4:5], v[0:1]
	;; [unrolled: 1-line block ×3, first 2 shown]
	ds_read_b64 v[163:164], v140
	ds_read_b64 v[165:166], v158
	;; [unrolled: 1-line block ×5, first 2 shown]
	s_waitcnt lgkmcnt(0)
	s_barrier
	v_add_f64 v[12:13], v[12:13], v[116:117]
	v_add_f64 v[8:9], v[8:9], v[10:11]
	v_fma_f64 v[10:11], v[22:23], s[14:15], v[20:21]
	v_fma_f64 v[0:1], v[22:23], s[16:17], v[0:1]
	v_fma_f64 v[18:19], v[78:79], s[16:17], v[18:19]
	ds_write2_b64 v140, v[2:3], v[4:5] offset1:125
	v_add_f64 v[2:3], v[116:117], v[114:115]
	v_add_f64 v[4:5], v[112:113], v[118:119]
	;; [unrolled: 1-line block ×3, first 2 shown]
	v_fma_f64 v[10:11], v[8:9], s[6:7], v[10:11]
	v_fma_f64 v[0:1], v[8:9], s[6:7], v[0:1]
	v_add_f64 v[20:21], v[106:107], -v[96:97]
	v_fma_f64 v[8:9], v[16:17], s[6:7], v[18:19]
	v_add_f64 v[18:19], v[92:93], -v[110:111]
	v_fma_f64 v[2:3], v[2:3], -0.5, v[48:49]
	v_fma_f64 v[4:5], v[4:5], -0.5, v[48:49]
	v_add_f64 v[12:13], v[12:13], v[118:119]
	v_add_f64 v[16:17], v[112:113], -v[116:117]
	v_add_f64 v[22:23], v[118:119], -v[114:115]
	;; [unrolled: 1-line block ×4, first 2 shown]
	ds_write2_b64 v187, v[10:11], v[0:1] offset0:122 offset1:247
	v_add_f64 v[0:1], v[88:89], v[76:77]
	v_fma_f64 v[10:11], v[18:19], s[4:5], v[2:3]
	v_fma_f64 v[58:59], v[20:21], s[8:9], v[4:5]
	ds_write2_b64 v188, v[8:9], v[12:13] offset0:116 offset1:241
	v_add_f64 v[8:9], v[16:17], v[22:23]
	v_add_f64 v[16:17], v[46:47], v[72:73]
	;; [unrolled: 1-line block ×3, first 2 shown]
	v_add_f64 v[22:23], v[70:71], -v[94:95]
	v_fma_f64 v[0:1], v[0:1], -0.5, v[46:47]
	v_fma_f64 v[10:11], v[20:21], s[14:15], v[10:11]
	v_fma_f64 v[48:49], v[18:19], s[14:15], v[58:59]
	;; [unrolled: 1-line block ×4, first 2 shown]
	v_add_f64 v[50:51], v[72:73], -v[88:89]
	v_add_f64 v[58:59], v[98:99], -v[76:77]
	v_add_f64 v[16:17], v[16:17], v[88:89]
	v_fma_f64 v[60:61], v[22:23], s[4:5], v[0:1]
	v_add_f64 v[78:79], v[84:85], -v[68:69]
	v_fma_f64 v[10:11], v[8:9], s[6:7], v[10:11]
	v_fma_f64 v[2:3], v[20:21], s[16:17], v[2:3]
	;; [unrolled: 1-line block ×4, first 2 shown]
	v_add_f64 v[48:49], v[72:73], v[98:99]
	v_add_f64 v[20:21], v[50:51], v[58:59]
	;; [unrolled: 1-line block ×3, first 2 shown]
	v_fma_f64 v[50:51], v[78:79], s[14:15], v[60:61]
	v_lshl_add_u32 v162, v56, 3, 0
	v_fma_f64 v[2:3], v[8:9], s[6:7], v[2:3]
	v_fma_f64 v[4:5], v[12:13], s[6:7], v[4:5]
	ds_write2_b64 v189, v[10:11], v[18:19] offset0:110 offset1:235
	v_fma_f64 v[10:11], v[48:49], -0.5, v[46:47]
	v_add_f64 v[18:19], v[76:77], -v[98:99]
	v_add_f64 v[8:9], v[16:17], v[98:99]
	v_fma_f64 v[12:13], v[20:21], s[6:7], v[50:51]
	v_add_f64 v[16:17], v[88:89], -v[72:73]
	v_add_u32_e32 v191, 0x2400, v162
	ds_write2_b64 v190, v[4:5], v[2:3] offset0:104 offset1:229
	v_add_f64 v[2:3], v[64:65], v[52:53]
	v_fma_f64 v[4:5], v[78:79], s[8:9], v[10:11]
	v_fma_f64 v[10:11], v[78:79], s[4:5], v[10:11]
	v_add_f64 v[46:47], v[54:55], -v[64:65]
	ds_write2_b64 v191, v[8:9], v[12:13] offset0:98 offset1:223
	v_add_f64 v[8:9], v[16:17], v[18:19]
	v_add_f64 v[16:17], v[54:55], v[130:131]
	v_add_f64 v[18:19], v[32:33], -v[124:125]
	v_fma_f64 v[2:3], v[2:3], -0.5, v[42:43]
	v_fma_f64 v[4:5], v[22:23], s[14:15], v[4:5]
	v_fma_f64 v[10:11], v[22:23], s[16:17], v[10:11]
	v_add_f64 v[12:13], v[42:43], v[54:55]
	v_add_f64 v[48:49], v[130:131], -v[52:53]
	v_add_f64 v[50:51], v[62:63], -v[24:25]
	v_fma_f64 v[16:17], v[16:17], -0.5, v[42:43]
	v_add_u32_e32 v192, 0x2c00, v162
	v_fma_f64 v[42:43], v[18:19], s[4:5], v[2:3]
	v_fma_f64 v[4:5], v[8:9], s[6:7], v[4:5]
	v_fma_f64 v[8:9], v[8:9], s[6:7], v[10:11]
	v_add_f64 v[12:13], v[12:13], v[64:65]
	v_add_f64 v[10:11], v[64:65], -v[54:55]
	v_add_f64 v[58:59], v[52:53], -v[130:131]
	v_add_f64 v[46:47], v[46:47], v[48:49]
	v_fma_f64 v[48:49], v[50:51], s[8:9], v[16:17]
	v_fma_f64 v[42:43], v[50:51], s[14:15], v[42:43]
	v_add_f64 v[60:61], v[34:35], v[66:67]
	ds_write2_b64 v192, v[4:5], v[8:9] offset0:92 offset1:217
	v_fma_f64 v[8:9], v[50:51], s[4:5], v[16:17]
	v_add_f64 v[12:13], v[12:13], v[52:53]
	v_add_f64 v[4:5], v[10:11], v[58:59]
	;; [unrolled: 1-line block ×3, first 2 shown]
	v_fma_f64 v[10:11], v[18:19], s[14:15], v[48:49]
	v_fma_f64 v[16:17], v[46:47], s[6:7], v[42:43]
	v_add_f64 v[42:43], v[40:41], v[30:31]
	v_fma_f64 v[48:49], v[60:61], -0.5, v[40:41]
	v_fma_f64 v[8:9], v[18:19], s[16:17], v[8:9]
	v_add_f64 v[12:13], v[12:13], v[130:131]
	v_add_f64 v[58:59], v[26:27], -v[120:121]
	v_add_f64 v[171:172], v[28:29], -v[122:123]
	v_fma_f64 v[10:11], v[4:5], s[6:7], v[10:11]
	v_add_f64 v[60:61], v[30:31], -v[34:35]
	v_add_f64 v[42:43], v[42:43], v[34:35]
	v_add_f64 v[82:83], v[126:127], -v[66:67]
	v_fma_f64 v[4:5], v[4:5], s[6:7], v[8:9]
	v_fma_f64 v[8:9], v[80:81], -0.5, v[40:41]
	v_fma_f64 v[169:170], v[58:59], s[4:5], v[48:49]
	ds_write2_b64 v193, v[12:13], v[16:17] offset0:83 offset1:208
	v_fma_f64 v[0:1], v[22:23], s[8:9], v[0:1]
	v_fma_f64 v[2:3], v[18:19], s[8:9], v[2:3]
	v_add_f64 v[12:13], v[42:43], v[66:67]
	v_add_f64 v[16:17], v[60:61], v[82:83]
	ds_write2_b64 v194, v[10:11], v[4:5] offset0:77 offset1:202
	v_add_f64 v[4:5], v[34:35], -v[30:31]
	v_add_f64 v[10:11], v[66:67], -v[126:127]
	v_fma_f64 v[42:43], v[171:172], s[8:9], v[8:9]
	v_fma_f64 v[8:9], v[171:172], s[4:5], v[8:9]
	v_add_f64 v[60:61], v[86:87], v[108:109]
	v_fma_f64 v[18:19], v[58:59], s[8:9], v[48:49]
	v_fma_f64 v[40:41], v[171:172], s[14:15], v[169:170]
	;; [unrolled: 1-line block ×3, first 2 shown]
	v_add_f64 v[169:170], v[14:15], -v[38:39]
	v_add_f64 v[4:5], v[4:5], v[10:11]
	v_fma_f64 v[10:11], v[58:59], s[14:15], v[42:43]
	v_fma_f64 v[8:9], v[58:59], s[16:17], v[8:9]
	v_fma_f64 v[14:15], v[60:61], -0.5, v[163:164]
	v_fma_f64 v[2:3], v[50:51], s[16:17], v[2:3]
	v_fma_f64 v[18:19], v[171:172], s[16:17], v[18:19]
	v_add_f64 v[12:13], v[12:13], v[126:127]
	v_fma_f64 v[40:41], v[16:17], s[6:7], v[40:41]
	v_fma_f64 v[0:1], v[20:21], s[6:7], v[0:1]
	;; [unrolled: 1-line block ×4, first 2 shown]
	v_add_f64 v[173:174], v[36:37], -v[6:7]
	v_add_f64 v[6:7], v[104:105], -v[86:87]
	;; [unrolled: 1-line block ×3, first 2 shown]
	v_fma_f64 v[36:37], v[169:170], s[4:5], v[14:15]
	v_fma_f64 v[14:15], v[169:170], s[8:9], v[14:15]
	;; [unrolled: 1-line block ×4, first 2 shown]
	ds_write2_b64 v196, v[12:13], v[40:41] offset0:68 offset1:193
	ds_write2_b64 v197, v[10:11], v[4:5] offset0:62 offset1:187
	ds_write_b64 v162, v[0:1] offset:14000
	ds_write_b64 v44, v[2:3] offset:19000
	;; [unrolled: 1-line block ×3, first 2 shown]
	v_add_f64 v[16:17], v[104:105], v[90:91]
	v_add_f64 v[6:7], v[6:7], v[22:23]
	v_fma_f64 v[8:9], v[173:174], s[16:17], v[36:37]
	v_fma_f64 v[14:15], v[173:174], s[14:15], v[14:15]
	s_waitcnt lgkmcnt(0)
	s_barrier
	ds_read_b64 v[82:83], v159
	ds_read_b64 v[60:61], v160
	;; [unrolled: 1-line block ×5, first 2 shown]
	v_add_f64 v[160:161], v[165:166], v[92:93]
	v_add_f64 v[183:184], v[106:107], v[96:97]
	;; [unrolled: 1-line block ×3, first 2 shown]
	v_fma_f64 v[158:159], v[16:17], -0.5, v[163:164]
	v_fma_f64 v[171:172], v[6:7], s[6:7], v[8:9]
	v_fma_f64 v[175:176], v[6:7], s[6:7], v[14:15]
	v_add_f64 v[177:178], v[86:87], -v[104:105]
	v_add_f64 v[179:180], v[108:109], -v[90:91]
	v_add_f64 v[160:161], v[160:161], v[106:107]
	v_add_f64 v[112:113], v[112:113], -v[118:119]
	v_add_f64 v[114:115], v[116:117], -v[114:115]
	v_fma_f64 v[116:117], v[183:184], -0.5, v[165:166]
	v_fma_f64 v[118:119], v[185:186], -0.5, v[165:166]
	v_fma_f64 v[181:182], v[173:174], s[4:5], v[158:159]
	v_add_f64 v[86:87], v[163:164], v[86:87]
	ds_read2_b64 v[0:3], v142 offset0:113 offset1:238
	ds_read2_b64 v[8:11], v150 offset0:101 offset1:226
	;; [unrolled: 1-line block ×10, first 2 shown]
	s_waitcnt lgkmcnt(0)
	s_barrier
	ds_write2_b64 v187, v[171:172], v[175:176] offset0:122 offset1:247
	v_add_f64 v[171:172], v[177:178], v[179:180]
	v_add_f64 v[160:161], v[160:161], v[96:97]
	v_add_f64 v[165:166], v[92:93], -v[106:107]
	v_add_f64 v[177:178], v[110:111], -v[96:97]
	;; [unrolled: 1-line block ×4, first 2 shown]
	v_fma_f64 v[106:107], v[112:113], s[8:9], v[116:117]
	v_fma_f64 v[163:164], v[114:115], s[4:5], v[118:119]
	;; [unrolled: 1-line block ×5, first 2 shown]
	v_add_f64 v[86:87], v[86:87], v[104:105]
	v_fma_f64 v[104:105], v[173:174], s[8:9], v[158:159]
	v_add_f64 v[165:166], v[165:166], v[177:178]
	v_add_f64 v[92:93], v[92:93], v[96:97]
	v_fma_f64 v[96:97], v[114:115], s[16:17], v[106:107]
	v_fma_f64 v[106:107], v[112:113], s[16:17], v[163:164]
	;; [unrolled: 1-line block ×5, first 2 shown]
	v_add_f64 v[86:87], v[86:87], v[90:91]
	v_fma_f64 v[90:91], v[169:170], s[16:17], v[104:105]
	v_add_f64 v[104:105], v[160:161], v[110:111]
	v_fma_f64 v[96:97], v[165:166], s[6:7], v[96:97]
	v_fma_f64 v[106:107], v[92:93], s[6:7], v[106:107]
	;; [unrolled: 1-line block ×4, first 2 shown]
	v_add_f64 v[112:113], v[84:85], v[68:69]
	v_add_f64 v[86:87], v[86:87], v[108:109]
	v_fma_f64 v[90:91], v[171:172], s[6:7], v[90:91]
	ds_write2_b64 v188, v[116:117], v[104:105] offset0:116 offset1:241
	v_add_f64 v[104:105], v[70:71], v[94:95]
	ds_write2_b64 v189, v[96:97], v[106:107] offset0:110 offset1:235
	v_add_f64 v[96:97], v[167:168], v[70:71]
	v_add_f64 v[72:73], v[72:73], -v[98:99]
	v_fma_f64 v[98:99], v[112:113], -0.5, v[167:168]
	ds_write2_b64 v190, v[92:93], v[110:111] offset0:104 offset1:229
	ds_write2_b64 v140, v[86:87], v[90:91] offset1:125
	v_add_f64 v[76:77], v[88:89], -v[76:77]
	v_add_f64 v[88:89], v[70:71], -v[84:85]
	v_fma_f64 v[86:87], v[104:105], -0.5, v[167:168]
	v_add_f64 v[92:93], v[94:95], -v[68:69]
	v_add_f64 v[90:91], v[96:97], v[84:85]
	v_add_f64 v[70:71], v[84:85], -v[70:71]
	v_fma_f64 v[96:97], v[72:73], s[8:9], v[98:99]
	v_fma_f64 v[84:85], v[72:73], s[4:5], v[98:99]
	v_add_f64 v[98:99], v[68:69], -v[94:95]
	v_add_f64 v[54:55], v[54:55], -v[130:131]
	v_fma_f64 v[104:105], v[76:77], s[4:5], v[86:87]
	v_fma_f64 v[86:87], v[76:77], s[8:9], v[86:87]
	v_add_f64 v[88:89], v[88:89], v[92:93]
	v_add_f64 v[92:93], v[62:63], v[24:25]
	;; [unrolled: 1-line block ×3, first 2 shown]
	v_fma_f64 v[90:91], v[76:77], s[16:17], v[96:97]
	v_fma_f64 v[76:77], v[76:77], s[14:15], v[84:85]
	v_add_f64 v[70:71], v[70:71], v[98:99]
	v_fma_f64 v[84:85], v[72:73], s[16:17], v[104:105]
	v_fma_f64 v[72:73], v[72:73], s[14:15], v[86:87]
	v_add_f64 v[86:87], v[132:133], v[32:33]
	v_fma_f64 v[92:93], v[92:93], -0.5, v[132:133]
	v_add_f64 v[68:69], v[68:69], v[94:95]
	v_add_f64 v[94:95], v[32:33], v[124:125]
	v_add_f64 v[52:53], v[64:65], -v[52:53]
	v_fma_f64 v[90:91], v[88:89], s[6:7], v[90:91]
	v_fma_f64 v[84:85], v[70:71], s[6:7], v[84:85]
	v_fma_f64 v[70:71], v[70:71], s[6:7], v[72:73]
	v_add_f64 v[64:65], v[86:87], v[62:63]
	v_fma_f64 v[86:87], v[54:55], s[8:9], v[92:93]
	v_fma_f64 v[92:93], v[54:55], s[4:5], v[92:93]
	v_fma_f64 v[72:73], v[94:95], -0.5, v[132:133]
	v_fma_f64 v[76:77], v[88:89], s[6:7], v[76:77]
	v_add_f64 v[88:89], v[32:33], -v[62:63]
	v_add_f64 v[96:97], v[124:125], -v[24:25]
	;; [unrolled: 1-line block ×3, first 2 shown]
	v_add_f64 v[62:63], v[64:65], v[24:25]
	v_fma_f64 v[64:65], v[52:53], s[16:17], v[86:87]
	v_fma_f64 v[86:87], v[52:53], s[14:15], v[92:93]
	v_add_f64 v[92:93], v[28:29], v[122:123]
	v_fma_f64 v[94:95], v[52:53], s[4:5], v[72:73]
	v_fma_f64 v[52:53], v[52:53], s[8:9], v[72:73]
	v_add_f64 v[72:73], v[26:27], v[120:121]
	v_add_f64 v[88:89], v[88:89], v[96:97]
	v_add_f64 v[24:25], v[24:25], -v[124:125]
	v_add_f64 v[30:31], v[30:31], -v[126:127]
	v_add_f64 v[96:97], v[128:129], v[26:27]
	v_fma_f64 v[92:93], v[92:93], -0.5, v[128:129]
	v_add_f64 v[34:35], v[34:35], -v[66:67]
	v_fma_f64 v[52:53], v[54:55], s[14:15], v[52:53]
	v_fma_f64 v[66:67], v[72:73], -0.5, v[128:129]
	v_add_f64 v[72:73], v[26:27], -v[28:29]
	v_add_f64 v[24:25], v[32:33], v[24:25]
	v_fma_f64 v[32:33], v[54:55], s[16:17], v[94:95]
	v_add_f64 v[94:95], v[120:121], -v[122:123]
	v_add_f64 v[96:97], v[96:97], v[28:29]
	v_fma_f64 v[98:99], v[30:31], s[8:9], v[92:93]
	v_fma_f64 v[92:93], v[30:31], s[4:5], v[92:93]
	v_add_f64 v[26:27], v[28:29], -v[26:27]
	v_add_f64 v[28:29], v[122:123], -v[120:121]
	v_fma_f64 v[104:105], v[34:35], s[4:5], v[66:67]
	v_fma_f64 v[66:67], v[34:35], s[8:9], v[66:67]
	v_add_f64 v[54:55], v[72:73], v[94:95]
	v_add_f64 v[62:63], v[62:63], v[124:125]
	v_fma_f64 v[72:73], v[34:35], s[16:17], v[98:99]
	v_fma_f64 v[34:35], v[34:35], s[14:15], v[92:93]
	v_add_f64 v[92:93], v[96:97], v[122:123]
	v_add_f64 v[26:27], v[26:27], v[28:29]
	v_fma_f64 v[28:29], v[30:31], s[16:17], v[104:105]
	v_fma_f64 v[30:31], v[30:31], s[14:15], v[66:67]
	;; [unrolled: 1-line block ×6, first 2 shown]
	v_add_f64 v[52:53], v[92:93], v[120:121]
	v_fma_f64 v[72:73], v[54:55], s[6:7], v[72:73]
	v_fma_f64 v[28:29], v[26:27], s[6:7], v[28:29]
	;; [unrolled: 1-line block ×4, first 2 shown]
	ds_write2_b64 v191, v[68:69], v[90:91] offset0:98 offset1:223
	ds_write2_b64 v192, v[84:85], v[70:71] offset0:92 offset1:217
	ds_write_b64 v162, v[76:77] offset:14000
	ds_write2_b64 v193, v[62:63], v[64:65] offset0:83 offset1:208
	ds_write2_b64 v194, v[32:33], v[24:25] offset0:77 offset1:202
	ds_write_b64 v44, v[66:67] offset:19000
	;; [unrolled: 3-line block ×3, first 2 shown]
	s_waitcnt lgkmcnt(0)
	s_barrier
	s_and_saveexec_b64 s[20:21], vcc
	s_cbranch_execz .LBB0_15
; %bb.14:
	v_lshlrev_b32_e32 v44, 2, v138
	v_lshlrev_b64 v[24:25], 4, v[44:45]
	v_mov_b32_e32 v52, s13
	v_add_co_u32_e32 v24, vcc, s12, v24
	v_addc_co_u32_e32 v25, vcc, v52, v25, vcc
	s_movk_i32 s1, 0x26c0
	v_add_co_u32_e32 v53, vcc, s1, v24
	v_addc_co_u32_e32 v54, vcc, 0, v25, vcc
	v_add_co_u32_e32 v62, vcc, s0, v24
	v_addc_co_u32_e32 v63, vcc, 0, v25, vcc
	global_load_dwordx4 v[24:27], v[62:63], off offset:1728
	global_load_dwordx4 v[28:31], v[53:54], off offset:48
	global_load_dwordx4 v[32:35], v[53:54], off offset:32
	global_load_dwordx4 v[70:73], v[53:54], off offset:16
	v_lshlrev_b32_e32 v44, 2, v137
	v_lshlrev_b64 v[53:54], 4, v[44:45]
	v_mul_lo_u32 v103, s18, v103
	v_add_co_u32_e32 v44, vcc, s12, v53
	v_addc_co_u32_e32 v55, vcc, v52, v54, vcc
	v_add_co_u32_e32 v53, vcc, s1, v44
	v_addc_co_u32_e32 v54, vcc, 0, v55, vcc
	;; [unrolled: 2-line block ×3, first 2 shown]
	global_load_dwordx4 v[87:90], v[53:54], off offset:16
	global_load_dwordx4 v[91:94], v[62:63], off offset:1728
	global_load_dwordx4 v[95:98], v[53:54], off offset:32
	global_load_dwordx4 v[104:107], v[53:54], off offset:48
	v_mul_lo_u32 v55, s19, v102
	v_mad_u64_u32 v[84:85], s[18:19], s18, v102, 0
	ds_read2_b64 v[108:111], v155 offset0:89 offset1:214
	ds_read2_b64 v[66:69], v150 offset0:101 offset1:226
	;; [unrolled: 1-line block ×6, first 2 shown]
	v_sub_u32_e32 v53, 0, v157
	v_add3_u32 v85, v85, v103, v55
	v_sub_u32_e32 v44, 0, v156
	v_add_u32_e32 v53, v147, v53
	v_add_u32_e32 v44, v146, v44
	ds_read_b64 v[53:54], v53
	ds_read_b64 v[76:77], v44
	v_lshlrev_b32_e32 v44, 2, v136
	v_sub_u32_e32 v86, 0, v152
	v_sub_u32_e32 v99, 0, v153
	v_add_u32_e32 v86, v139, v86
	s_waitcnt vmcnt(7)
	v_mul_f64 v[102:103], v[8:9], v[26:27]
	s_waitcnt lgkmcnt(6)
	v_mul_f64 v[26:27], v[66:67], v[26:27]
	s_waitcnt vmcnt(5)
	v_mul_f64 v[126:127], v[4:5], v[34:35]
	v_mul_f64 v[128:129], v[18:19], v[30:31]
	s_waitcnt vmcnt(4)
	v_mul_f64 v[124:125], v[22:23], v[72:73]
	v_mul_f64 v[72:73], v[110:111], v[72:73]
	s_waitcnt lgkmcnt(5)
	v_mul_f64 v[34:35], v[62:63], v[34:35]
	s_waitcnt lgkmcnt(4)
	v_mul_f64 v[30:31], v[114:115], v[30:31]
	v_fma_f64 v[66:67], v[24:25], v[66:67], -v[102:103]
	v_fma_f64 v[8:9], v[8:9], v[24:25], v[26:27]
	v_fma_f64 v[26:27], v[32:33], v[62:63], -v[126:127]
	v_fma_f64 v[62:63], v[28:29], v[114:115], -v[128:129]
	;; [unrolled: 1-line block ×3, first 2 shown]
	v_fma_f64 v[102:103], v[22:23], v[70:71], v[72:73]
	v_fma_f64 v[4:5], v[4:5], v[32:33], v[34:35]
	;; [unrolled: 1-line block ×3, first 2 shown]
	s_waitcnt vmcnt(3)
	v_mul_f64 v[130:131], v[20:21], v[89:90]
	v_mul_f64 v[89:90], v[108:109], v[89:90]
	s_waitcnt vmcnt(1)
	v_mul_f64 v[137:138], v[58:59], v[97:98]
	v_mul_f64 v[132:133], v[50:51], v[93:94]
	s_waitcnt vmcnt(0)
	v_mul_f64 v[146:147], v[16:17], v[106:107]
	s_waitcnt lgkmcnt(2)
	v_mul_f64 v[97:98], v[122:123], v[97:98]
	v_add_f64 v[34:35], v[66:67], v[62:63]
	s_waitcnt lgkmcnt(1)
	v_add_f64 v[18:19], v[66:67], v[53:54]
	v_fma_f64 v[108:109], v[87:88], v[108:109], -v[130:131]
	v_mul_f64 v[93:94], v[118:119], v[93:94]
	v_fma_f64 v[114:115], v[95:96], v[122:123], -v[137:138]
	v_fma_f64 v[137:138], v[20:21], v[87:88], v[89:90]
	v_add_f64 v[87:88], v[24:25], v[26:27]
	v_fma_f64 v[110:111], v[91:92], v[118:119], -v[132:133]
	v_fma_f64 v[118:119], v[104:105], v[112:113], -v[146:147]
	v_fma_f64 v[146:147], v[58:59], v[95:96], v[97:98]
	v_add_f64 v[22:23], v[24:25], -v[66:67]
	v_add_f64 v[28:29], v[26:27], -v[62:63]
	;; [unrolled: 1-line block ×5, first 2 shown]
	v_add_f64 v[97:98], v[8:9], v[32:33]
	v_fma_f64 v[34:35], v[34:35], -0.5, v[53:54]
	v_add_f64 v[58:59], v[8:9], -v[32:33]
	v_add_f64 v[122:123], v[24:25], -v[26:27]
	v_add_f64 v[18:19], v[24:25], v[18:19]
	v_fma_f64 v[24:25], v[87:88], -0.5, v[53:54]
	v_add_f64 v[28:29], v[22:23], v[28:29]
	v_add_f64 v[53:54], v[70:71], v[72:73]
	v_fma_f64 v[22:23], v[97:98], -0.5, v[46:47]
	v_fma_f64 v[70:71], v[30:31], s[8:9], v[34:35]
	v_fma_f64 v[34:35], v[30:31], s[4:5], v[34:35]
	v_add_f64 v[66:67], v[66:67], -v[62:63]
	v_add_f64 v[126:127], v[102:103], v[4:5]
	v_fma_f64 v[72:73], v[58:59], s[4:5], v[24:25]
	v_fma_f64 v[24:25], v[58:59], s[8:9], v[24:25]
	v_add_f64 v[130:131], v[110:111], v[118:119]
	v_add_f64 v[18:19], v[26:27], v[18:19]
	v_fma_f64 v[26:27], v[122:123], s[4:5], v[22:23]
	v_fma_f64 v[22:23], v[122:123], s[8:9], v[22:23]
	;; [unrolled: 1-line block ×6, first 2 shown]
	v_add_f64 v[20:21], v[46:47], v[8:9]
	v_add_f64 v[89:90], v[102:103], -v[8:9]
	v_add_f64 v[95:96], v[4:5], -v[32:33]
	v_fma_f64 v[46:47], v[126:127], -0.5, v[46:47]
	v_add_f64 v[34:35], v[62:63], v[18:19]
	v_fma_f64 v[62:63], v[66:67], s[16:17], v[26:27]
	v_fma_f64 v[126:127], v[66:67], s[14:15], v[22:23]
	;; [unrolled: 1-line block ×4, first 2 shown]
	s_waitcnt lgkmcnt(0)
	v_fma_f64 v[28:29], v[130:131], -0.5, v[76:77]
	v_fma_f64 v[130:131], v[50:51], v[91:92], v[93:94]
	v_lshlrev_b64 v[50:51], 4, v[44:45]
	v_fma_f64 v[18:19], v[53:54], s[6:7], v[72:73]
	v_add_co_u32_e32 v44, vcc, s12, v50
	v_fma_f64 v[30:31], v[53:54], s[6:7], v[24:25]
	v_addc_co_u32_e32 v54, vcc, v52, v51, vcc
	v_add_co_u32_e32 v50, vcc, s1, v44
	v_addc_co_u32_e32 v51, vcc, 0, v54, vcc
	v_add_co_u32_e32 v53, vcc, s0, v44
	v_addc_co_u32_e32 v54, vcc, 0, v54, vcc
	v_add_f64 v[132:133], v[89:90], v[95:96]
	global_load_dwordx4 v[70:73], v[50:51], off offset:32
	global_load_dwordx4 v[87:90], v[50:51], off offset:16
	;; [unrolled: 1-line block ×4, first 2 shown]
	v_mul_f64 v[24:25], v[112:113], v[106:107]
	v_add_f64 v[8:9], v[8:9], -v[102:103]
	v_add_f64 v[124:125], v[32:33], -v[4:5]
	;; [unrolled: 1-line block ×3, first 2 shown]
	v_add_f64 v[50:51], v[102:103], v[20:21]
	v_add_f64 v[53:54], v[108:109], -v[110:111]
	v_add_f64 v[58:59], v[114:115], -v[118:119]
	v_fma_f64 v[20:21], v[132:133], s[6:7], v[62:63]
	v_fma_f64 v[148:149], v[16:17], v[104:105], v[24:25]
	v_lshlrev_b32_e32 v44, 2, v135
	v_add_f64 v[8:9], v[8:9], v[124:125]
	v_fma_f64 v[124:125], v[66:67], s[8:9], v[46:47]
	v_fma_f64 v[46:47], v[66:67], s[4:5], v[46:47]
	v_add_f64 v[66:67], v[108:109], v[114:115]
	v_fma_f64 v[102:103], v[128:129], s[8:9], v[28:29]
	v_add_f64 v[4:5], v[50:51], v[4:5]
	v_add_f64 v[104:105], v[130:131], -v[148:149]
	v_add_f64 v[53:54], v[53:54], v[58:59]
	v_fma_f64 v[62:63], v[128:129], s[4:5], v[28:29]
	v_fma_f64 v[16:17], v[122:123], s[16:17], v[124:125]
	;; [unrolled: 1-line block ×3, first 2 shown]
	v_fma_f64 v[50:51], v[66:67], -0.5, v[76:77]
	v_add_f64 v[66:67], v[110:111], -v[108:109]
	v_add_f64 v[106:107], v[130:131], v[148:149]
	v_fma_f64 v[58:59], v[104:105], s[14:15], v[102:103]
	v_add_f64 v[102:103], v[118:119], -v[114:115]
	v_add_f64 v[32:33], v[4:5], v[32:33]
	v_fma_f64 v[16:17], v[8:9], s[6:7], v[16:17]
	v_fma_f64 v[28:29], v[8:9], s[6:7], v[46:47]
	;; [unrolled: 1-line block ×3, first 2 shown]
	v_add_f64 v[4:5], v[110:111], v[76:77]
	v_add_f64 v[76:77], v[108:109], -v[114:115]
	v_fma_f64 v[46:47], v[53:54], s[6:7], v[58:59]
	v_fma_f64 v[58:59], v[104:105], s[16:17], v[62:63]
	v_add_f64 v[62:63], v[66:67], v[102:103]
	v_fma_f64 v[66:67], v[106:107], -0.5, v[60:61]
	v_fma_f64 v[102:103], v[104:105], s[8:9], v[50:51]
	v_fma_f64 v[8:9], v[128:129], s[14:15], v[8:9]
	v_add_f64 v[104:105], v[137:138], v[146:147]
	v_fma_f64 v[24:25], v[132:133], s[6:7], v[126:127]
	v_add_f64 v[4:5], v[108:109], v[4:5]
	v_add_f64 v[106:107], v[137:138], -v[130:131]
	v_add_f64 v[108:109], v[146:147], -v[148:149]
	;; [unrolled: 1-line block ×3, first 2 shown]
	v_fma_f64 v[110:111], v[76:77], s[4:5], v[66:67]
	v_lshlrev_b64 v[44:45], 4, v[44:45]
	v_fma_f64 v[54:55], v[53:54], s[6:7], v[58:59]
	v_add_co_u32_e32 v53, vcc, s12, v44
	v_fma_f64 v[58:59], v[128:129], s[16:17], v[102:103]
	v_addc_co_u32_e32 v102, vcc, v52, v45, vcc
	v_add_co_u32_e32 v44, vcc, s1, v53
	v_addc_co_u32_e32 v45, vcc, 0, v102, vcc
	v_fma_f64 v[66:67], v[76:77], s[8:9], v[66:67]
	v_fma_f64 v[50:51], v[62:63], s[6:7], v[8:9]
	v_fma_f64 v[8:9], v[104:105], -0.5, v[60:61]
	v_add_co_u32_e32 v52, vcc, s0, v53
	v_addc_co_u32_e32 v53, vcc, 0, v102, vcc
	v_add_f64 v[4:5], v[114:115], v[4:5]
	v_add_f64 v[114:115], v[106:107], v[108:109]
	v_fma_f64 v[128:129], v[126:127], s[16:17], v[110:111]
	global_load_dwordx4 v[102:105], v[52:53], off offset:1728
	global_load_dwordx4 v[106:109], v[44:45], off offset:48
	;; [unrolled: 1-line block ×4, first 2 shown]
	v_fma_f64 v[66:67], v[126:127], s[14:15], v[66:67]
	v_fma_f64 v[152:153], v[126:127], s[8:9], v[8:9]
	;; [unrolled: 1-line block ×3, first 2 shown]
	v_add_f64 v[132:133], v[130:131], -v[137:138]
	v_add_f64 v[150:151], v[148:149], -v[146:147]
	v_fma_f64 v[58:59], v[62:63], s[6:7], v[58:59]
	v_add_f64 v[62:63], v[118:119], v[4:5]
	v_add_f64 v[60:61], v[60:61], v[130:131]
	v_fma_f64 v[52:53], v[114:115], s[6:7], v[66:67]
	v_fma_f64 v[66:67], v[76:77], s[16:17], v[152:153]
	;; [unrolled: 1-line block ×3, first 2 shown]
	s_waitcnt vmcnt(5)
	v_mul_f64 v[76:77], v[48:49], v[93:94]
	s_waitcnt vmcnt(4)
	v_mul_f64 v[118:119], v[38:39], v[97:98]
	v_add_f64 v[4:5], v[132:133], v[150:151]
	ds_read2_b64 v[130:133], v144 offset0:65 offset1:190
	v_fma_f64 v[44:45], v[114:115], s[6:7], v[128:129]
	v_mul_f64 v[114:115], v[42:43], v[89:90]
	v_mul_f64 v[135:136], v[56:57], v[72:73]
	;; [unrolled: 1-line block ×3, first 2 shown]
	v_fma_f64 v[76:77], v[91:92], v[116:117], -v[76:77]
	s_waitcnt lgkmcnt(0)
	v_fma_f64 v[118:119], v[95:96], v[132:133], -v[118:119]
	v_mul_f64 v[93:94], v[116:117], v[93:94]
	v_mul_f64 v[97:98], v[132:133], v[97:98]
	ds_read2_b64 v[126:129], v145 offset0:95 offset1:220
	v_add_f64 v[60:61], v[137:138], v[60:61]
	v_fma_f64 v[120:121], v[70:71], v[120:121], -v[135:136]
	v_fma_f64 v[132:133], v[56:57], v[70:71], v[72:73]
	v_add_u32_e32 v70, v141, v99
	s_waitcnt lgkmcnt(0)
	v_fma_f64 v[114:115], v[87:88], v[128:129], -v[114:115]
	v_mul_f64 v[89:90], v[128:129], v[89:90]
	v_add_f64 v[56:57], v[76:77], v[118:119]
	v_fma_f64 v[144:145], v[48:49], v[91:92], v[93:94]
	v_fma_f64 v[150:151], v[38:39], v[95:96], v[97:98]
	ds_read_b64 v[70:71], v70
	v_add_f64 v[38:39], v[120:121], -v[118:119]
	v_fma_f64 v[48:49], v[4:5], s[6:7], v[66:67]
	v_add_f64 v[91:92], v[118:119], -v[120:121]
	v_fma_f64 v[128:129], v[42:43], v[87:88], v[89:90]
	v_add_f64 v[42:43], v[114:115], -v[76:77]
	v_add_f64 v[87:88], v[114:115], v[120:121]
	s_waitcnt lgkmcnt(0)
	v_fma_f64 v[89:90], v[56:57], -0.5, v[70:71]
	v_fma_f64 v[56:57], v[4:5], s[6:7], v[8:9]
	v_add_f64 v[8:9], v[144:145], v[150:151]
	v_add_f64 v[4:5], v[60:61], v[146:147]
	v_add_f64 v[146:147], v[114:115], -v[120:121]
	v_add_f64 v[72:73], v[128:129], -v[132:133]
	v_add_f64 v[38:39], v[42:43], v[38:39]
	v_add_f64 v[42:43], v[144:145], -v[150:151]
	v_fma_f64 v[60:61], v[87:88], -0.5, v[70:71]
	v_add_f64 v[70:71], v[76:77], v[70:71]
	v_fma_f64 v[8:9], v[8:9], -0.5, v[82:83]
	v_add_f64 v[95:96], v[128:129], -v[144:145]
	v_add_f64 v[97:98], v[132:133], -v[150:151]
	v_fma_f64 v[66:67], v[72:73], s[8:9], v[89:90]
	v_fma_f64 v[87:88], v[72:73], s[4:5], v[89:90]
	v_add_f64 v[89:90], v[76:77], -v[114:115]
	v_fma_f64 v[93:94], v[42:43], s[4:5], v[60:61]
	v_fma_f64 v[60:61], v[42:43], s[8:9], v[60:61]
	v_add_f64 v[70:71], v[114:115], v[70:71]
	v_add_f64 v[152:153], v[76:77], -v[118:119]
	v_fma_f64 v[76:77], v[146:147], s[4:5], v[8:9]
	v_fma_f64 v[66:67], v[42:43], s[14:15], v[66:67]
	;; [unrolled: 1-line block ×3, first 2 shown]
	v_add_f64 v[87:88], v[89:90], v[91:92]
	v_fma_f64 v[89:90], v[72:73], s[14:15], v[93:94]
	v_fma_f64 v[91:92], v[72:73], s[16:17], v[60:61]
	v_add_f64 v[70:71], v[120:121], v[70:71]
	v_add_f64 v[154:155], v[95:96], v[97:98]
	v_fma_f64 v[93:94], v[152:153], s[16:17], v[76:77]
	v_add_co_u32_e32 v95, vcc, s0, v74
	v_addc_co_u32_e32 v96, vcc, 0, v75, vcc
	v_add_co_u32_e32 v74, vcc, s1, v74
	v_add_f64 v[60:61], v[4:5], v[148:149]
	v_fma_f64 v[72:73], v[38:39], s[6:7], v[66:67]
	v_fma_f64 v[38:39], v[38:39], s[6:7], v[42:43]
	;; [unrolled: 1-line block ×4, first 2 shown]
	v_add_f64 v[76:77], v[118:119], v[70:71]
	v_fma_f64 v[70:71], v[154:155], s[6:7], v[93:94]
	ds_read2_b64 v[87:90], v143 offset0:83 offset1:208
	ds_read2_b64 v[91:94], v142 offset0:113 offset1:238
	global_load_dwordx4 v[95:98], v[95:96], off offset:1728
	v_addc_co_u32_e32 v75, vcc, 0, v75, vcc
	global_load_dwordx4 v[114:117], v[74:75], off offset:48
	global_load_dwordx4 v[118:121], v[74:75], off offset:32
	;; [unrolled: 1-line block ×3, first 2 shown]
	s_waitcnt vmcnt(7)
	v_mul_f64 v[141:142], v[2:3], v[104:105]
	s_waitcnt vmcnt(6)
	v_mul_f64 v[148:149], v[36:37], v[108:109]
	v_add_f64 v[66:67], v[128:129], v[132:133]
	s_waitcnt vmcnt(4)
	v_mul_f64 v[156:157], v[126:127], v[124:125]
	s_waitcnt lgkmcnt(1)
	v_mul_f64 v[158:159], v[89:90], v[112:113]
	v_mul_f64 v[124:125], v[40:41], v[124:125]
	v_mul_f64 v[112:113], v[14:15], v[112:113]
	v_fma_f64 v[8:9], v[146:147], s[8:9], v[8:9]
	s_waitcnt lgkmcnt(0)
	v_fma_f64 v[141:142], v[102:103], v[93:94], -v[141:142]
	v_fma_f64 v[148:149], v[106:107], v[130:131], -v[148:149]
	v_fma_f64 v[66:67], v[66:67], -0.5, v[82:83]
	v_fma_f64 v[156:157], v[40:41], v[122:123], v[156:157]
	v_fma_f64 v[158:159], v[14:15], v[110:111], v[158:159]
	v_mul_f64 v[40:41], v[93:94], v[104:105]
	v_mul_f64 v[93:94], v[130:131], v[108:109]
	ds_read_b64 v[108:109], v86
	v_add_f64 v[74:75], v[144:145], -v[128:129]
	v_add_f64 v[14:15], v[141:142], v[148:149]
	v_add_f64 v[82:83], v[82:83], v[144:145]
	v_fma_f64 v[122:123], v[122:123], v[126:127], -v[124:125]
	v_fma_f64 v[89:90], v[110:111], v[89:90], -v[112:113]
	v_add_f64 v[110:111], v[156:157], -v[158:159]
	v_fma_f64 v[112:113], v[2:3], v[102:103], v[40:41]
	v_fma_f64 v[93:94], v[36:37], v[106:107], v[93:94]
	v_add_f64 v[2:3], v[150:151], -v[132:133]
	s_waitcnt lgkmcnt(0)
	v_fma_f64 v[14:15], v[14:15], -0.5, v[108:109]
	v_fma_f64 v[36:37], v[152:153], s[8:9], v[66:67]
	v_fma_f64 v[8:9], v[152:153], s[14:15], v[8:9]
	;; [unrolled: 1-line block ×3, first 2 shown]
	v_add_f64 v[66:67], v[128:129], v[82:83]
	v_add_f64 v[82:83], v[122:123], -v[141:142]
	v_add_f64 v[102:103], v[89:90], -v[148:149]
	;; [unrolled: 1-line block ×3, first 2 shown]
	v_fma_f64 v[104:105], v[110:111], s[8:9], v[14:15]
	v_add_f64 v[74:75], v[74:75], v[2:3]
	v_fma_f64 v[2:3], v[110:111], s[4:5], v[14:15]
	v_fma_f64 v[14:15], v[146:147], s[16:17], v[36:37]
	;; [unrolled: 1-line block ×3, first 2 shown]
	v_add_f64 v[66:67], v[66:67], v[132:133]
	v_add_f64 v[82:83], v[82:83], v[102:103]
	;; [unrolled: 1-line block ×3, first 2 shown]
	v_fma_f64 v[36:37], v[154:155], s[6:7], v[8:9]
	v_fma_f64 v[104:105], v[106:107], s[14:15], v[104:105]
	v_fma_f64 v[8:9], v[106:107], s[16:17], v[2:3]
	v_fma_f64 v[2:3], v[74:75], s[6:7], v[14:15]
	v_add_f64 v[14:15], v[112:113], v[93:94]
	v_fma_f64 v[40:41], v[74:75], s[6:7], v[40:41]
	v_add_f64 v[74:75], v[66:67], v[150:151]
	v_fma_f64 v[66:67], v[102:103], -0.5, v[108:109]
	v_add_f64 v[102:103], v[141:142], v[108:109]
	v_add_f64 v[124:125], v[122:123], -v[89:90]
	v_fma_f64 v[104:105], v[82:83], s[6:7], v[104:105]
	v_fma_f64 v[108:109], v[82:83], s[6:7], v[8:9]
	v_fma_f64 v[14:15], v[14:15], -0.5, v[80:81]
	v_add_f64 v[8:9], v[141:142], -v[122:123]
	v_add_f64 v[82:83], v[148:149], -v[89:90]
	v_fma_f64 v[126:127], v[106:107], s[4:5], v[66:67]
	v_fma_f64 v[66:67], v[106:107], s[8:9], v[66:67]
	v_add_f64 v[102:103], v[122:123], v[102:103]
	v_add_f64 v[106:107], v[156:157], -v[112:113]
	v_add_f64 v[122:123], v[156:157], v[158:159]
	v_add_f64 v[128:129], v[158:159], -v[93:94]
	v_add_f64 v[130:131], v[141:142], -v[148:149]
	v_fma_f64 v[132:133], v[124:125], s[4:5], v[14:15]
	v_fma_f64 v[14:15], v[124:125], s[8:9], v[14:15]
	v_add_f64 v[82:83], v[8:9], v[82:83]
	v_fma_f64 v[8:9], v[110:111], s[14:15], v[126:127]
	v_fma_f64 v[66:67], v[110:111], s[16:17], v[66:67]
	v_fma_f64 v[110:111], v[122:123], -0.5, v[80:81]
	v_add_f64 v[89:90], v[89:90], v[102:103]
	v_add_f64 v[106:107], v[106:107], v[128:129]
	v_fma_f64 v[102:103], v[130:131], s[16:17], v[132:133]
	v_fma_f64 v[122:123], v[130:131], s[14:15], v[14:15]
	v_add_f64 v[126:127], v[112:113], -v[156:157]
	v_add_f64 v[128:129], v[93:94], -v[158:159]
	v_fma_f64 v[8:9], v[82:83], s[6:7], v[8:9]
	v_fma_f64 v[132:133], v[130:131], s[8:9], v[110:111]
	;; [unrolled: 1-line block ×3, first 2 shown]
	s_waitcnt vmcnt(3)
	v_mul_f64 v[82:83], v[0:1], v[97:98]
	v_fma_f64 v[102:103], v[106:107], s[6:7], v[102:103]
	v_fma_f64 v[106:107], v[106:107], s[6:7], v[122:123]
	s_waitcnt vmcnt(2)
	v_mul_f64 v[122:123], v[6:7], v[116:117]
	v_add_f64 v[66:67], v[148:149], v[89:90]
	v_add_f64 v[89:90], v[126:127], v[128:129]
	s_waitcnt vmcnt(0)
	v_mul_f64 v[128:129], v[10:11], v[137:138]
	v_fma_f64 v[110:111], v[130:131], s[4:5], v[110:111]
	v_mul_f64 v[130:131], v[12:13], v[120:121]
	v_fma_f64 v[126:127], v[124:125], s[16:17], v[132:133]
	v_fma_f64 v[82:83], v[95:96], v[91:92], -v[82:83]
	v_mul_f64 v[132:133], v[68:69], v[137:138]
	v_mul_f64 v[120:121], v[87:88], v[120:121]
	v_fma_f64 v[122:123], v[114:115], v[64:65], -v[122:123]
	v_fma_f64 v[68:69], v[135:136], v[68:69], -v[128:129]
	v_mul_f64 v[91:92], v[91:92], v[97:98]
	v_mul_f64 v[64:65], v[64:65], v[116:117]
	v_fma_f64 v[86:87], v[118:119], v[87:88], -v[130:131]
	v_add_f64 v[80:81], v[80:81], v[112:113]
	v_fma_f64 v[10:11], v[10:11], v[135:136], v[132:133]
	v_fma_f64 v[98:99], v[12:13], v[118:119], v[120:121]
	v_add_f64 v[12:13], v[82:83], v[122:123]
	ds_read_b64 v[112:113], v140
	v_fma_f64 v[0:1], v[0:1], v[95:96], v[91:92]
	v_fma_f64 v[114:115], v[6:7], v[114:115], v[64:65]
	v_add_f64 v[64:65], v[68:69], v[86:87]
	v_fma_f64 v[110:111], v[124:125], s[14:15], v[110:111]
	v_add_f64 v[80:81], v[156:157], v[80:81]
	v_add_f64 v[91:92], v[10:11], -v[98:99]
	s_waitcnt lgkmcnt(0)
	v_fma_f64 v[95:96], v[12:13], -0.5, v[112:113]
	v_add_f64 v[116:117], v[68:69], -v[82:83]
	v_add_f64 v[118:119], v[86:87], -v[122:123]
	;; [unrolled: 1-line block ×3, first 2 shown]
	v_fma_f64 v[64:65], v[64:65], -0.5, v[112:113]
	v_fma_f64 v[6:7], v[89:90], s[6:7], v[126:127]
	v_fma_f64 v[12:13], v[89:90], s[6:7], v[110:111]
	v_add_f64 v[80:81], v[80:81], v[158:159]
	v_fma_f64 v[88:89], v[91:92], s[8:9], v[95:96]
	v_fma_f64 v[95:96], v[91:92], s[4:5], v[95:96]
	v_add_f64 v[110:111], v[116:117], v[118:119]
	v_add_f64 v[116:117], v[82:83], -v[68:69]
	v_add_f64 v[118:119], v[122:123], -v[86:87]
	v_fma_f64 v[124:125], v[120:121], s[4:5], v[64:65]
	v_fma_f64 v[126:127], v[120:121], s[8:9], v[64:65]
	v_add_f64 v[112:113], v[82:83], v[112:113]
	v_fma_f64 v[88:89], v[120:121], s[14:15], v[88:89]
	v_fma_f64 v[95:96], v[120:121], s[16:17], v[95:96]
	v_add_f64 v[120:121], v[0:1], v[114:115]
	v_add_f64 v[64:65], v[80:81], v[93:94]
	;; [unrolled: 1-line block ×3, first 2 shown]
	v_fma_f64 v[93:94], v[91:92], s[14:15], v[124:125]
	v_fma_f64 v[90:91], v[91:92], s[16:17], v[126:127]
	v_add_f64 v[118:119], v[10:11], v[98:99]
	v_add_f64 v[112:113], v[68:69], v[112:113]
	v_fma_f64 v[80:81], v[110:111], s[6:7], v[88:89]
	v_fma_f64 v[88:89], v[110:111], s[6:7], v[95:96]
	v_fma_f64 v[110:111], v[120:121], -0.5, v[78:79]
	v_add_f64 v[68:69], v[68:69], -v[86:87]
	v_fma_f64 v[92:93], v[116:117], s[6:7], v[93:94]
	v_fma_f64 v[96:97], v[116:117], s[6:7], v[90:91]
	v_add_f64 v[82:83], v[82:83], -v[122:123]
	v_fma_f64 v[116:117], v[118:119], -0.5, v[78:79]
	v_add_f64 v[86:87], v[86:87], v[112:113]
	v_add_f64 v[90:91], v[10:11], -v[0:1]
	v_add_f64 v[94:95], v[98:99], -v[114:115]
	v_add_f64 v[120:121], v[0:1], -v[10:11]
	v_add_f64 v[0:1], v[78:79], v[0:1]
	v_fma_f64 v[118:119], v[68:69], s[4:5], v[110:111]
	v_fma_f64 v[110:111], v[68:69], s[8:9], v[110:111]
	;; [unrolled: 1-line block ×3, first 2 shown]
	v_add_f64 v[124:125], v[114:115], -v[98:99]
	v_add_f64 v[112:113], v[122:123], v[86:87]
	v_add_f64 v[86:87], v[90:91], v[94:95]
	v_fma_f64 v[90:91], v[82:83], s[4:5], v[116:117]
	v_add_f64 v[0:1], v[10:11], v[0:1]
	s_mov_b32 s0, 0xd1b71759
	v_mul_hi_u32 v116, v134, s0
	v_fma_f64 v[94:95], v[82:83], s[16:17], v[118:119]
	v_fma_f64 v[82:83], v[82:83], s[14:15], v[110:111]
	;; [unrolled: 1-line block ×3, first 2 shown]
	v_lshrrev_b32_e32 v78, 9, v116
	v_mul_u32_u24_e32 v78, 0x271, v78
	v_add_f64 v[110:111], v[120:121], v[124:125]
	v_fma_f64 v[68:69], v[68:69], s[14:15], v[90:91]
	v_sub_u32_e32 v118, v134, v78
	v_add_f64 v[0:1], v[0:1], v[98:99]
	v_mad_u64_u32 v[116:117], s[4:5], s2, v118, 0
	v_fma_f64 v[78:79], v[86:87], s[6:7], v[94:95]
	v_fma_f64 v[86:87], v[86:87], s[6:7], v[82:83]
	v_mov_b32_e32 v82, v117
	v_mad_u64_u32 v[82:83], s[4:5], s3, v118, v[82:83]
	v_fma_f64 v[90:91], v[110:111], s[6:7], v[10:11]
	v_fma_f64 v[94:95], v[110:111], s[6:7], v[68:69]
	v_add_f64 v[110:111], v[0:1], v[114:115]
	v_lshlrev_b64 v[0:1], 4, v[84:85]
	v_mov_b32_e32 v117, v82
	v_mov_b32_e32 v10, s11
	v_add_co_u32_e32 v68, vcc, s10, v0
	v_add_u32_e32 v82, 0x271, v118
	v_addc_co_u32_e32 v69, vcc, v10, v1, vcc
	v_mad_u64_u32 v[10:11], s[4:5], s2, v82, 0
	v_lshlrev_b64 v[0:1], 4, v[100:101]
	s_movk_i32 s1, 0xc35
	v_add_co_u32_e32 v84, vcc, v68, v0
	v_addc_co_u32_e32 v85, vcc, v69, v1, vcc
	v_mad_u64_u32 v[68:69], s[4:5], s3, v82, v[11:12]
	v_lshlrev_b64 v[0:1], 4, v[116:117]
	v_add_co_u32_e32 v0, vcc, v84, v0
	v_addc_co_u32_e32 v1, vcc, v85, v1, vcc
	v_mov_b32_e32 v11, v68
	v_add_u32_e32 v68, 0x4e2, v118
	global_store_dwordx4 v[0:1], v[110:113], off
	v_lshlrev_b64 v[0:1], 4, v[10:11]
	v_mad_u64_u32 v[10:11], s[4:5], s2, v68, 0
	v_add_co_u32_e32 v0, vcc, v84, v0
	v_mad_u64_u32 v[68:69], s[4:5], s3, v68, v[11:12]
	v_add_u32_e32 v69, 0x753, v118
	v_mad_u64_u32 v[82:83], s[4:5], s2, v69, 0
	v_addc_co_u32_e32 v1, vcc, v85, v1, vcc
	v_mov_b32_e32 v11, v68
	global_store_dwordx4 v[0:1], v[94:97], off
	v_lshlrev_b64 v[0:1], 4, v[10:11]
	v_mov_b32_e32 v10, v83
	v_mad_u64_u32 v[10:11], s[4:5], s3, v69, v[10:11]
	v_add_u32_e32 v68, 0x9c4, v118
	v_add_co_u32_e32 v0, vcc, v84, v0
	v_mov_b32_e32 v83, v10
	v_mad_u64_u32 v[10:11], s[4:5], s2, v68, 0
	v_addc_co_u32_e32 v1, vcc, v85, v1, vcc
	v_mad_u64_u32 v[68:69], s[4:5], s3, v68, v[11:12]
	v_add_u32_e32 v69, 0x7d, v134
	global_store_dwordx4 v[0:1], v[86:89], off
	v_lshlrev_b64 v[0:1], 4, v[82:83]
	v_mul_hi_u32 v82, v69, s0
	v_add_co_u32_e32 v0, vcc, v84, v0
	v_addc_co_u32_e32 v1, vcc, v85, v1, vcc
	v_mov_b32_e32 v11, v68
	global_store_dwordx4 v[0:1], v[78:81], off
	v_lshlrev_b64 v[0:1], 4, v[10:11]
	v_lshrrev_b32_e32 v10, 9, v82
	v_mul_u32_u24_e32 v11, 0x271, v10
	v_sub_u32_e32 v11, v69, v11
	v_mad_u32_u24 v80, v10, s1, v11
	v_mad_u64_u32 v[10:11], s[4:5], s2, v80, 0
	v_add_co_u32_e32 v0, vcc, v84, v0
	v_mad_u64_u32 v[68:69], s[4:5], s3, v80, v[11:12]
	v_add_u32_e32 v69, 0x271, v80
	v_mad_u64_u32 v[78:79], s[4:5], s2, v69, 0
	v_addc_co_u32_e32 v1, vcc, v85, v1, vcc
	v_mov_b32_e32 v11, v68
	global_store_dwordx4 v[0:1], v[90:93], off
	v_lshlrev_b64 v[0:1], 4, v[10:11]
	v_mov_b32_e32 v10, v79
	v_mad_u64_u32 v[10:11], s[4:5], s3, v69, v[10:11]
	v_add_co_u32_e32 v0, vcc, v84, v0
	v_addc_co_u32_e32 v1, vcc, v85, v1, vcc
	global_store_dwordx4 v[0:1], v[64:67], off
	v_mov_b32_e32 v79, v10
	v_add_u32_e32 v64, 0x4e2, v80
	v_mad_u64_u32 v[10:11], s[4:5], s2, v64, 0
	v_add_u32_e32 v67, 0x753, v80
	v_lshlrev_b64 v[0:1], 4, v[78:79]
	v_mad_u64_u32 v[64:65], s[4:5], s3, v64, v[11:12]
	v_mad_u64_u32 v[65:66], s[4:5], s2, v67, 0
	v_add_co_u32_e32 v0, vcc, v84, v0
	v_addc_co_u32_e32 v1, vcc, v85, v1, vcc
	v_mov_b32_e32 v11, v64
	global_store_dwordx4 v[0:1], v[12:15], off
	v_lshlrev_b64 v[0:1], 4, v[10:11]
	v_mov_b32_e32 v10, v66
	v_mad_u64_u32 v[10:11], s[4:5], s3, v67, v[10:11]
	v_add_u32_e32 v12, 0x9c4, v80
	v_add_co_u32_e32 v0, vcc, v84, v0
	v_mov_b32_e32 v66, v10
	v_mad_u64_u32 v[10:11], s[4:5], s2, v12, 0
	v_addc_co_u32_e32 v1, vcc, v85, v1, vcc
	v_mad_u64_u32 v[11:12], s[4:5], s3, v12, v[11:12]
	v_add_u32_e32 v12, 0xfa, v134
	global_store_dwordx4 v[0:1], v[106:109], off
	v_lshlrev_b64 v[0:1], 4, v[65:66]
	v_mul_hi_u32 v13, v12, s0
	v_add_co_u32_e32 v0, vcc, v84, v0
	v_addc_co_u32_e32 v1, vcc, v85, v1, vcc
	global_store_dwordx4 v[0:1], v[102:105], off
	v_lshlrev_b64 v[0:1], 4, v[10:11]
	v_lshrrev_b32_e32 v10, 9, v13
	v_mul_u32_u24_e32 v11, 0x271, v10
	v_sub_u32_e32 v11, v12, v11
	v_mad_u32_u24 v14, v10, s1, v11
	v_mad_u64_u32 v[10:11], s[4:5], s2, v14, 0
	v_add_u32_e32 v15, 0x271, v14
	v_add_co_u32_e32 v0, vcc, v84, v0
	v_mad_u64_u32 v[11:12], s[4:5], s3, v14, v[11:12]
	v_mad_u64_u32 v[12:13], s[4:5], s2, v15, 0
	v_addc_co_u32_e32 v1, vcc, v85, v1, vcc
	global_store_dwordx4 v[0:1], v[6:9], off
	v_lshlrev_b64 v[0:1], 4, v[10:11]
	v_mov_b32_e32 v6, v13
	v_mad_u64_u32 v[6:7], s[4:5], s3, v15, v[6:7]
	v_add_u32_e32 v8, 0x4e2, v14
	v_add_co_u32_e32 v0, vcc, v84, v0
	v_mov_b32_e32 v13, v6
	v_mad_u64_u32 v[6:7], s[4:5], s2, v8, 0
	v_addc_co_u32_e32 v1, vcc, v85, v1, vcc
	v_mad_u64_u32 v[7:8], s[4:5], s3, v8, v[7:8]
	v_add_u32_e32 v10, 0x753, v14
	global_store_dwordx4 v[0:1], v[74:77], off
	v_lshlrev_b64 v[0:1], 4, v[12:13]
	v_mad_u64_u32 v[8:9], s[4:5], s2, v10, 0
	v_add_co_u32_e32 v0, vcc, v84, v0
	v_addc_co_u32_e32 v1, vcc, v85, v1, vcc
	global_store_dwordx4 v[0:1], v[40:43], off
	v_lshlrev_b64 v[0:1], 4, v[6:7]
	v_mov_b32_e32 v6, v9
	v_mad_u64_u32 v[6:7], s[4:5], s3, v10, v[6:7]
	v_add_co_u32_e32 v0, vcc, v84, v0
	v_addc_co_u32_e32 v1, vcc, v85, v1, vcc
	v_mov_b32_e32 v9, v6
	global_store_dwordx4 v[0:1], v[36:39], off
	v_lshlrev_b64 v[0:1], 4, v[8:9]
	v_add_u32_e32 v8, 0x9c4, v14
	v_mad_u64_u32 v[6:7], s[4:5], s2, v8, 0
	v_add_co_u32_e32 v0, vcc, v84, v0
	v_mad_u64_u32 v[7:8], s[4:5], s3, v8, v[7:8]
	v_add_u32_e32 v8, 0x177, v134
	v_mul_hi_u32 v9, v8, s0
	v_addc_co_u32_e32 v1, vcc, v85, v1, vcc
	global_store_dwordx4 v[0:1], v[70:73], off
	v_lshlrev_b64 v[0:1], 4, v[6:7]
	v_lshrrev_b32_e32 v6, 9, v9
	v_mul_u32_u24_e32 v7, 0x271, v6
	v_sub_u32_e32 v7, v8, v7
	v_mad_u32_u24 v10, v6, s1, v7
	v_mad_u64_u32 v[6:7], s[4:5], s2, v10, 0
	v_add_u32_e32 v11, 0x271, v10
	v_add_co_u32_e32 v0, vcc, v84, v0
	v_mad_u64_u32 v[7:8], s[4:5], s3, v10, v[7:8]
	v_mad_u64_u32 v[8:9], s[4:5], s2, v11, 0
	v_addc_co_u32_e32 v1, vcc, v85, v1, vcc
	global_store_dwordx4 v[0:1], v[2:5], off
	v_lshlrev_b64 v[0:1], 4, v[6:7]
	v_mov_b32_e32 v2, v9
	v_mad_u64_u32 v[2:3], s[4:5], s3, v11, v[2:3]
	v_add_u32_e32 v4, 0x4e2, v10
	v_add_co_u32_e32 v0, vcc, v84, v0
	v_mov_b32_e32 v9, v2
	v_mad_u64_u32 v[2:3], s[4:5], s2, v4, 0
	v_addc_co_u32_e32 v1, vcc, v85, v1, vcc
	v_mad_u64_u32 v[3:4], s[4:5], s3, v4, v[3:4]
	v_add_u32_e32 v6, 0x753, v10
	global_store_dwordx4 v[0:1], v[60:63], off
	v_lshlrev_b64 v[0:1], 4, v[8:9]
	v_mad_u64_u32 v[4:5], s[4:5], s2, v6, 0
	v_add_co_u32_e32 v0, vcc, v84, v0
	v_addc_co_u32_e32 v1, vcc, v85, v1, vcc
	global_store_dwordx4 v[0:1], v[56:59], off
	v_lshlrev_b64 v[0:1], 4, v[2:3]
	v_mov_b32_e32 v2, v5
	v_mad_u64_u32 v[2:3], s[4:5], s3, v6, v[2:3]
	v_add_co_u32_e32 v0, vcc, v84, v0
	v_addc_co_u32_e32 v1, vcc, v85, v1, vcc
	v_mov_b32_e32 v5, v2
	global_store_dwordx4 v[0:1], v[52:55], off
	v_lshlrev_b64 v[0:1], 4, v[4:5]
	v_add_u32_e32 v4, 0x9c4, v10
	v_mad_u64_u32 v[2:3], s[4:5], s2, v4, 0
	v_add_u32_e32 v5, 0x1f4, v134
	v_mul_hi_u32 v6, v5, s0
	v_mad_u64_u32 v[3:4], s[4:5], s3, v4, v[3:4]
	v_add_co_u32_e32 v0, vcc, v84, v0
	v_lshrrev_b32_e32 v4, 9, v6
	v_mul_u32_u24_e32 v6, 0x271, v4
	v_sub_u32_e32 v5, v5, v6
	v_mad_u32_u24 v6, v4, s1, v5
	v_mad_u64_u32 v[4:5], s[0:1], s2, v6, 0
	v_addc_co_u32_e32 v1, vcc, v85, v1, vcc
	global_store_dwordx4 v[0:1], v[44:47], off
	v_lshlrev_b64 v[0:1], 4, v[2:3]
	v_mov_b32_e32 v2, v5
	v_mad_u64_u32 v[2:3], s[0:1], s3, v6, v[2:3]
	v_add_co_u32_e32 v0, vcc, v84, v0
	v_addc_co_u32_e32 v1, vcc, v85, v1, vcc
	v_mov_b32_e32 v5, v2
	global_store_dwordx4 v[0:1], v[48:51], off
	v_lshlrev_b64 v[0:1], 4, v[4:5]
	v_add_u32_e32 v4, 0x271, v6
	v_mad_u64_u32 v[2:3], s[0:1], s2, v4, 0
	v_add_u32_e32 v7, 0x4e2, v6
	v_add_co_u32_e32 v0, vcc, v84, v0
	v_mad_u64_u32 v[3:4], s[0:1], s3, v4, v[3:4]
	v_mad_u64_u32 v[4:5], s[0:1], s2, v7, 0
	v_addc_co_u32_e32 v1, vcc, v85, v1, vcc
	global_store_dwordx4 v[0:1], v[32:35], off
	v_lshlrev_b64 v[0:1], 4, v[2:3]
	v_mov_b32_e32 v2, v5
	v_mad_u64_u32 v[2:3], s[0:1], s3, v7, v[2:3]
	v_add_co_u32_e32 v0, vcc, v84, v0
	v_addc_co_u32_e32 v1, vcc, v85, v1, vcc
	v_mov_b32_e32 v5, v2
	global_store_dwordx4 v[0:1], v[28:31], off
	v_lshlrev_b64 v[0:1], 4, v[4:5]
	v_add_u32_e32 v4, 0x753, v6
	v_mad_u64_u32 v[2:3], s[0:1], s2, v4, 0
	v_add_u32_e32 v6, 0x9c4, v6
	v_add_co_u32_e32 v0, vcc, v84, v0
	v_mad_u64_u32 v[3:4], s[0:1], s3, v4, v[3:4]
	v_mad_u64_u32 v[4:5], s[0:1], s2, v6, 0
	v_addc_co_u32_e32 v1, vcc, v85, v1, vcc
	global_store_dwordx4 v[0:1], v[24:27], off
	v_lshlrev_b64 v[0:1], 4, v[2:3]
	v_mov_b32_e32 v2, v5
	v_mad_u64_u32 v[2:3], s[0:1], s3, v6, v[2:3]
	v_add_co_u32_e32 v0, vcc, v84, v0
	v_addc_co_u32_e32 v1, vcc, v85, v1, vcc
	v_mov_b32_e32 v5, v2
	global_store_dwordx4 v[0:1], v[20:23], off
	v_lshlrev_b64 v[0:1], 4, v[4:5]
	v_add_co_u32_e32 v0, vcc, v84, v0
	v_addc_co_u32_e32 v1, vcc, v85, v1, vcc
	global_store_dwordx4 v[0:1], v[16:19], off
.LBB0_15:
	s_endpgm
	.section	.rodata,"a",@progbits
	.p2align	6, 0x0
	.amdhsa_kernel fft_rtc_back_len3125_factors_5_5_5_5_5_wgs_125_tpt_125_halfLds_dp_op_CI_CI_sbrr_dirReg
		.amdhsa_group_segment_fixed_size 0
		.amdhsa_private_segment_fixed_size 0
		.amdhsa_kernarg_size 104
		.amdhsa_user_sgpr_count 6
		.amdhsa_user_sgpr_private_segment_buffer 1
		.amdhsa_user_sgpr_dispatch_ptr 0
		.amdhsa_user_sgpr_queue_ptr 0
		.amdhsa_user_sgpr_kernarg_segment_ptr 1
		.amdhsa_user_sgpr_dispatch_id 0
		.amdhsa_user_sgpr_flat_scratch_init 0
		.amdhsa_user_sgpr_private_segment_size 0
		.amdhsa_uses_dynamic_stack 0
		.amdhsa_system_sgpr_private_segment_wavefront_offset 0
		.amdhsa_system_sgpr_workgroup_id_x 1
		.amdhsa_system_sgpr_workgroup_id_y 0
		.amdhsa_system_sgpr_workgroup_id_z 0
		.amdhsa_system_sgpr_workgroup_info 0
		.amdhsa_system_vgpr_workitem_id 0
		.amdhsa_next_free_vgpr 203
		.amdhsa_next_free_sgpr 32
		.amdhsa_reserve_vcc 1
		.amdhsa_reserve_flat_scratch 0
		.amdhsa_float_round_mode_32 0
		.amdhsa_float_round_mode_16_64 0
		.amdhsa_float_denorm_mode_32 3
		.amdhsa_float_denorm_mode_16_64 3
		.amdhsa_dx10_clamp 1
		.amdhsa_ieee_mode 1
		.amdhsa_fp16_overflow 0
		.amdhsa_exception_fp_ieee_invalid_op 0
		.amdhsa_exception_fp_denorm_src 0
		.amdhsa_exception_fp_ieee_div_zero 0
		.amdhsa_exception_fp_ieee_overflow 0
		.amdhsa_exception_fp_ieee_underflow 0
		.amdhsa_exception_fp_ieee_inexact 0
		.amdhsa_exception_int_div_zero 0
	.end_amdhsa_kernel
	.text
.Lfunc_end0:
	.size	fft_rtc_back_len3125_factors_5_5_5_5_5_wgs_125_tpt_125_halfLds_dp_op_CI_CI_sbrr_dirReg, .Lfunc_end0-fft_rtc_back_len3125_factors_5_5_5_5_5_wgs_125_tpt_125_halfLds_dp_op_CI_CI_sbrr_dirReg
                                        ; -- End function
	.section	.AMDGPU.csdata,"",@progbits
; Kernel info:
; codeLenInByte = 22576
; NumSgprs: 36
; NumVgprs: 203
; ScratchSize: 0
; MemoryBound: 1
; FloatMode: 240
; IeeeMode: 1
; LDSByteSize: 0 bytes/workgroup (compile time only)
; SGPRBlocks: 4
; VGPRBlocks: 50
; NumSGPRsForWavesPerEU: 36
; NumVGPRsForWavesPerEU: 203
; Occupancy: 1
; WaveLimiterHint : 1
; COMPUTE_PGM_RSRC2:SCRATCH_EN: 0
; COMPUTE_PGM_RSRC2:USER_SGPR: 6
; COMPUTE_PGM_RSRC2:TRAP_HANDLER: 0
; COMPUTE_PGM_RSRC2:TGID_X_EN: 1
; COMPUTE_PGM_RSRC2:TGID_Y_EN: 0
; COMPUTE_PGM_RSRC2:TGID_Z_EN: 0
; COMPUTE_PGM_RSRC2:TIDIG_COMP_CNT: 0
	.type	__hip_cuid_59ca3ad0b6d457fd,@object ; @__hip_cuid_59ca3ad0b6d457fd
	.section	.bss,"aw",@nobits
	.globl	__hip_cuid_59ca3ad0b6d457fd
__hip_cuid_59ca3ad0b6d457fd:
	.byte	0                               ; 0x0
	.size	__hip_cuid_59ca3ad0b6d457fd, 1

	.ident	"AMD clang version 19.0.0git (https://github.com/RadeonOpenCompute/llvm-project roc-6.4.0 25133 c7fe45cf4b819c5991fe208aaa96edf142730f1d)"
	.section	".note.GNU-stack","",@progbits
	.addrsig
	.addrsig_sym __hip_cuid_59ca3ad0b6d457fd
	.amdgpu_metadata
---
amdhsa.kernels:
  - .args:
      - .actual_access:  read_only
        .address_space:  global
        .offset:         0
        .size:           8
        .value_kind:     global_buffer
      - .offset:         8
        .size:           8
        .value_kind:     by_value
      - .actual_access:  read_only
        .address_space:  global
        .offset:         16
        .size:           8
        .value_kind:     global_buffer
      - .actual_access:  read_only
        .address_space:  global
        .offset:         24
        .size:           8
        .value_kind:     global_buffer
      - .actual_access:  read_only
        .address_space:  global
        .offset:         32
        .size:           8
        .value_kind:     global_buffer
      - .offset:         40
        .size:           8
        .value_kind:     by_value
      - .actual_access:  read_only
        .address_space:  global
        .offset:         48
        .size:           8
        .value_kind:     global_buffer
      - .actual_access:  read_only
        .address_space:  global
        .offset:         56
        .size:           8
        .value_kind:     global_buffer
      - .offset:         64
        .size:           4
        .value_kind:     by_value
      - .actual_access:  read_only
        .address_space:  global
        .offset:         72
        .size:           8
        .value_kind:     global_buffer
      - .actual_access:  read_only
        .address_space:  global
        .offset:         80
        .size:           8
        .value_kind:     global_buffer
      - .actual_access:  read_only
        .address_space:  global
        .offset:         88
        .size:           8
        .value_kind:     global_buffer
      - .actual_access:  write_only
        .address_space:  global
        .offset:         96
        .size:           8
        .value_kind:     global_buffer
    .group_segment_fixed_size: 0
    .kernarg_segment_align: 8
    .kernarg_segment_size: 104
    .language:       OpenCL C
    .language_version:
      - 2
      - 0
    .max_flat_workgroup_size: 125
    .name:           fft_rtc_back_len3125_factors_5_5_5_5_5_wgs_125_tpt_125_halfLds_dp_op_CI_CI_sbrr_dirReg
    .private_segment_fixed_size: 0
    .sgpr_count:     36
    .sgpr_spill_count: 0
    .symbol:         fft_rtc_back_len3125_factors_5_5_5_5_5_wgs_125_tpt_125_halfLds_dp_op_CI_CI_sbrr_dirReg.kd
    .uniform_work_group_size: 1
    .uses_dynamic_stack: false
    .vgpr_count:     203
    .vgpr_spill_count: 0
    .wavefront_size: 64
amdhsa.target:   amdgcn-amd-amdhsa--gfx906
amdhsa.version:
  - 1
  - 2
...

	.end_amdgpu_metadata
